;; amdgpu-corpus repo=ROCm/rocFFT kind=compiled arch=gfx1201 opt=O3
	.text
	.amdgcn_target "amdgcn-amd-amdhsa--gfx1201"
	.amdhsa_code_object_version 6
	.protected	bluestein_single_back_len1309_dim1_sp_op_CI_CI ; -- Begin function bluestein_single_back_len1309_dim1_sp_op_CI_CI
	.globl	bluestein_single_back_len1309_dim1_sp_op_CI_CI
	.p2align	8
	.type	bluestein_single_back_len1309_dim1_sp_op_CI_CI,@function
bluestein_single_back_len1309_dim1_sp_op_CI_CI: ; @bluestein_single_back_len1309_dim1_sp_op_CI_CI
; %bb.0:
	s_load_b128 s[8:11], s[0:1], 0x28
	v_mul_u32_u24_e32 v1, 0x227, v0
	s_mov_b32 s2, exec_lo
	v_mov_b32_e32 v89, 0
	s_delay_alu instid0(VALU_DEP_2) | instskip(NEXT) | instid1(VALU_DEP_1)
	v_lshrrev_b32_e32 v1, 16, v1
	v_add_nc_u32_e32 v88, ttmp9, v1
	s_wait_kmcnt 0x0
	s_delay_alu instid0(VALU_DEP_1)
	v_cmpx_gt_u64_e64 s[8:9], v[88:89]
	s_cbranch_execz .LBB0_23
; %bb.1:
	s_clause 0x1
	s_load_b64 s[8:9], s[0:1], 0x0
	s_load_b64 s[12:13], s[0:1], 0x38
	v_mul_lo_u16 v1, 0x77, v1
	s_delay_alu instid0(VALU_DEP_1) | instskip(NEXT) | instid1(VALU_DEP_1)
	v_sub_nc_u16 v0, v0, v1
	v_and_b32_e32 v98, 0xffff, v0
	v_cmp_gt_u16_e32 vcc_lo, 0x4d, v0
	s_delay_alu instid0(VALU_DEP_2)
	v_lshlrev_b32_e32 v97, 3, v98
	s_and_saveexec_b32 s3, vcc_lo
	s_cbranch_execz .LBB0_3
; %bb.2:
	s_load_b64 s[4:5], s[0:1], 0x18
	s_delay_alu instid0(VALU_DEP_1)
	v_add_nc_u32_e32 v70, 0x800, v97
	v_add_nc_u32_e32 v72, 0x1000, v97
	s_wait_kmcnt 0x0
	s_load_b128 s[4:7], s[4:5], 0x0
	s_wait_kmcnt 0x0
	v_mad_co_u64_u32 v[0:1], null, s6, v88, 0
	v_mad_co_u64_u32 v[2:3], null, s4, v98, 0
	s_delay_alu instid0(VALU_DEP_1) | instskip(NEXT) | instid1(VALU_DEP_1)
	v_mad_co_u64_u32 v[4:5], null, s7, v88, v[1:2]
	v_mad_co_u64_u32 v[5:6], null, s5, v98, v[3:4]
	v_mov_b32_e32 v1, v4
	s_mul_u64 s[4:5], s[4:5], 0x268
	s_delay_alu instid0(VALU_DEP_1) | instskip(NEXT) | instid1(VALU_DEP_3)
	v_lshlrev_b64_e32 v[0:1], 3, v[0:1]
	v_mov_b32_e32 v3, v5
	s_delay_alu instid0(VALU_DEP_2) | instskip(NEXT) | instid1(VALU_DEP_2)
	v_add_co_u32 v10, s2, s10, v0
	v_lshlrev_b64_e32 v[2:3], 3, v[2:3]
	s_delay_alu instid0(VALU_DEP_4)
	v_add_co_ci_u32_e64 v11, s2, s11, v1, s2
	s_clause 0xb
	global_load_b64 v[0:1], v97, s[8:9]
	global_load_b64 v[4:5], v97, s[8:9] offset:616
	global_load_b64 v[6:7], v97, s[8:9] offset:1232
	;; [unrolled: 1-line block ×11, first 2 shown]
	v_add_co_u32 v2, s2, v10, v2
	s_wait_alu 0xf1ff
	v_add_co_ci_u32_e64 v3, s2, v11, v3, s2
	s_clause 0x2
	global_load_b64 v[32:33], v97, s[8:9] offset:7392
	global_load_b64 v[34:35], v97, s[8:9] offset:8008
	;; [unrolled: 1-line block ×3, first 2 shown]
	s_wait_alu 0xfffe
	v_add_co_u32 v10, s2, v2, s4
	s_wait_alu 0xf1ff
	v_add_co_ci_u32_e64 v11, s2, s5, v3, s2
	s_delay_alu instid0(VALU_DEP_2) | instskip(SKIP_1) | instid1(VALU_DEP_2)
	v_add_co_u32 v20, s2, v10, s4
	s_wait_alu 0xf1ff
	v_add_co_ci_u32_e64 v21, s2, s5, v11, s2
	s_delay_alu instid0(VALU_DEP_2) | instskip(SKIP_1) | instid1(VALU_DEP_2)
	;; [unrolled: 4-line block ×3, first 2 shown]
	v_add_co_u32 v38, s2, v30, s4
	s_wait_alu 0xf1ff
	v_add_co_ci_u32_e64 v39, s2, s5, v31, s2
	s_clause 0x3
	global_load_b64 v[2:3], v[2:3], off
	global_load_b64 v[10:11], v[10:11], off
	;; [unrolled: 1-line block ×4, first 2 shown]
	v_add_co_u32 v40, s2, v38, s4
	s_wait_alu 0xf1ff
	v_add_co_ci_u32_e64 v41, s2, s5, v39, s2
	global_load_b64 v[38:39], v[38:39], off
	v_add_co_u32 v42, s2, v40, s4
	s_wait_alu 0xf1ff
	v_add_co_ci_u32_e64 v43, s2, s5, v41, s2
	global_load_b64 v[40:41], v[40:41], off
	;; [unrolled: 4-line block ×11, first 2 shown]
	v_add_co_u32 v62, s2, v60, s4
	s_wait_alu 0xf1ff
	v_add_co_ci_u32_e64 v63, s2, s5, v61, s2
	global_load_b64 v[64:65], v97, s[8:9] offset:9240
	global_load_b64 v[60:61], v[60:61], off
	global_load_b64 v[66:67], v97, s[8:9] offset:9856
	global_load_b64 v[62:63], v[62:63], off
	v_add_nc_u32_e32 v74, 0x2000, v97
	s_wait_loadcnt 0x12
	v_mul_f32_e32 v68, v3, v1
	v_mul_f32_e32 v69, v2, v1
	s_wait_loadcnt 0x11
	v_mul_f32_e32 v1, v11, v5
	s_delay_alu instid0(VALU_DEP_2) | instskip(NEXT) | instid1(VALU_DEP_2)
	v_fma_f32 v69, v3, v0, -v69
	v_fmac_f32_e32 v1, v10, v4
	v_dual_fmac_f32 v68, v2, v0 :: v_dual_add_nc_u32 v71, 0xc00, v97
	s_wait_loadcnt 0x10
	v_dual_mul_f32 v0, v10, v5 :: v_dual_mul_f32 v3, v21, v7
	v_mul_f32_e32 v7, v20, v7
	s_wait_loadcnt 0xf
	v_mul_f32_e32 v5, v31, v9
	v_mul_f32_e32 v9, v30, v9
	v_fma_f32 v2, v11, v4, -v0
	s_wait_loadcnt 0xe
	v_dual_fmac_f32 v3, v20, v6 :: v_dual_mul_f32 v0, v39, v13
	v_fma_f32 v4, v21, v6, -v7
	v_fmac_f32_e32 v5, v30, v8
	v_fma_f32 v6, v31, v8, -v9
	v_mul_f32_e32 v7, v38, v13
	ds_store_2addr_b64 v97, v[68:69], v[1:2] offset1:77
	s_wait_loadcnt 0xd
	v_dual_mul_f32 v2, v41, v15 :: v_dual_add_nc_u32 v73, 0x1800, v97
	v_fmac_f32_e32 v0, v38, v12
	ds_store_2addr_b64 v97, v[3:4], v[5:6] offset0:154 offset1:231
	s_wait_loadcnt 0xc
	v_dual_mul_f32 v4, v43, v17 :: v_dual_mul_f32 v3, v40, v15
	v_fmac_f32_e32 v2, v40, v14
	s_wait_loadcnt 0xa
	v_mul_f32_e32 v8, v47, v23
	v_fma_f32 v1, v39, v12, -v7
	v_fmac_f32_e32 v4, v42, v16
	v_fma_f32 v3, v41, v14, -v3
	v_mul_f32_e32 v6, v45, v19
	v_mul_f32_e32 v7, v44, v19
	;; [unrolled: 1-line block ×3, first 2 shown]
	v_fmac_f32_e32 v8, v46, v22
	ds_store_2addr_b64 v70, v[0:1], v[2:3] offset0:52 offset1:129
	s_wait_loadcnt 0x9
	v_mul_f32_e32 v1, v48, v25
	v_mul_f32_e32 v0, v49, v25
	v_dual_mul_f32 v5, v42, v17 :: v_dual_fmac_f32 v6, v44, v18
	v_fma_f32 v7, v45, v18, -v7
	s_wait_loadcnt 0x8
	v_mul_f32_e32 v2, v51, v27
	v_fmac_f32_e32 v0, v48, v24
	v_fma_f32 v5, v43, v16, -v5
	v_fma_f32 v1, v49, v24, -v1
	ds_store_2addr_b64 v71, v[4:5], v[6:7] offset0:78 offset1:155
	s_wait_loadcnt 0x7
	v_mul_f32_e32 v5, v52, v29
	s_wait_loadcnt 0x6
	v_mul_f32_e32 v6, v55, v33
	s_wait_loadcnt 0x5
	v_dual_mul_f32 v7, v54, v33 :: v_dual_mul_f32 v10, v57, v35
	v_dual_mul_f32 v4, v53, v29 :: v_dual_mul_f32 v3, v50, v27
	v_dual_fmac_f32 v2, v50, v26 :: v_dual_mul_f32 v11, v56, v35
	s_wait_loadcnt 0x4
	v_mul_f32_e32 v12, v59, v37
	v_dual_fmac_f32 v10, v56, v34 :: v_dual_mul_f32 v13, v58, v37
	s_wait_loadcnt 0x2
	v_mul_f32_e32 v14, v61, v65
	v_mul_f32_e32 v15, v60, v65
	s_wait_loadcnt 0x0
	v_mul_f32_e32 v17, v62, v67
	v_fmac_f32_e32 v6, v54, v32
	v_mul_f32_e32 v16, v63, v67
	v_fma_f32 v9, v47, v22, -v9
	v_fmac_f32_e32 v4, v52, v28
	v_fma_f32 v3, v51, v26, -v3
	v_fma_f32 v5, v53, v28, -v5
	v_fma_f32 v7, v55, v32, -v7
	v_fma_f32 v11, v57, v34, -v11
	v_fmac_f32_e32 v12, v58, v36
	v_fma_f32 v13, v59, v36, -v13
	v_fmac_f32_e32 v14, v60, v64
	v_fma_f32 v15, v61, v64, -v15
	;; [unrolled: 2-line block ×3, first 2 shown]
	ds_store_2addr_b64 v72, v[8:9], v[0:1] offset0:104 offset1:181
	ds_store_2addr_b64 v73, v[2:3], v[4:5] offset0:2 offset1:79
	;; [unrolled: 1-line block ×4, first 2 shown]
	ds_store_b64 v97, v[16:17] offset:9856
.LBB0_3:
	s_or_b32 exec_lo, exec_lo, s3
	v_mov_b32_e32 v4, 0
	v_mov_b32_e32 v5, 0
	global_wb scope:SCOPE_SE
	s_wait_dscnt 0x0
	s_wait_kmcnt 0x0
	s_barrier_signal -1
	s_barrier_wait -1
	global_inv scope:SCOPE_SE
                                        ; implicit-def: $vgpr16
                                        ; implicit-def: $vgpr12
                                        ; implicit-def: $vgpr8
                                        ; implicit-def: $vgpr36
                                        ; implicit-def: $vgpr26
                                        ; implicit-def: $vgpr34
                                        ; implicit-def: $vgpr30
                                        ; implicit-def: $vgpr22
	s_and_saveexec_b32 s2, vcc_lo
	s_cbranch_execz .LBB0_5
; %bb.4:
	v_add_nc_u32_e32 v0, 0x800, v97
	v_add_nc_u32_e32 v1, 0xc00, v97
	v_add_nc_u32_e32 v2, 0x1000, v97
	v_add_nc_u32_e32 v3, 0x1800, v97
	ds_load_2addr_b64 v[4:7], v97 offset1:77
	ds_load_2addr_b64 v[28:31], v0 offset0:52 offset1:129
	v_add_nc_u32_e32 v0, 0x2000, v97
	ds_load_2addr_b64 v[20:23], v97 offset0:154 offset1:231
	ds_load_2addr_b64 v[32:35], v1 offset0:78 offset1:155
	;; [unrolled: 1-line block ×6, first 2 shown]
	ds_load_b64 v[36:37], v97 offset:9856
.LBB0_5:
	s_wait_alu 0xfffe
	s_or_b32 exec_lo, exec_lo, s2
	s_wait_dscnt 0x0
	v_dual_sub_f32 v49, v7, v37 :: v_dual_sub_f32 v48, v6, v36
	v_dual_add_f32 v81, v36, v6 :: v_dual_add_f32 v82, v37, v7
	v_dual_add_f32 v106, v13, v31 :: v_dual_sub_f32 v141, v32, v18
	s_delay_alu instid0(VALU_DEP_3) | instskip(SKIP_3) | instid1(VALU_DEP_4)
	v_dual_mul_f32 v38, 0xbeb8f4ab, v49 :: v_dual_mul_f32 v39, 0xbeb8f4ab, v48
	v_dual_mul_f32 v56, 0xbf2c7751, v49 :: v_dual_mul_f32 v57, 0xbf2c7751, v48
	v_dual_add_f32 v93, v11, v21 :: v_dual_sub_f32 v142, v33, v19
	v_add_f32_e32 v111, v16, v34
	v_fma_f32 v1, 0x3f6eb680, v82, -v39
	s_delay_alu instid0(VALU_DEP_4) | instskip(SKIP_4) | instid1(VALU_DEP_4)
	v_fma_f32 v3, 0x3f3d2fb0, v82, -v57
	v_fmamk_f32 v0, v81, 0x3f6eb680, v38
	v_fmamk_f32 v2, v81, 0x3f3d2fb0, v56
	v_sub_f32_e32 v51, v21, v11
	v_add_f32_e32 v1, v1, v5
	v_dual_add_f32 v3, v3, v5 :: v_dual_add_f32 v0, v0, v4
	v_sub_f32_e32 v50, v20, v10
	v_add_f32_e32 v92, v10, v20
	v_add_f32_e32 v2, v2, v4
	v_dual_mul_f32 v54, 0xbf2c7751, v51 :: v_dual_sub_f32 v53, v23, v9
	s_delay_alu instid0(VALU_DEP_4) | instskip(SKIP_1) | instid1(VALU_DEP_3)
	v_dual_mul_f32 v55, 0xbf2c7751, v50 :: v_dual_sub_f32 v52, v22, v8
	v_dual_add_f32 v108, v18, v32 :: v_dual_mul_f32 v77, 0x3f763a35, v142
	v_mul_f32_e32 v65, 0xbf4c4adb, v53
	s_delay_alu instid0(VALU_DEP_3) | instskip(NEXT) | instid1(VALU_DEP_4)
	v_fma_f32 v42, 0x3f3d2fb0, v93, -v55
	v_dual_add_f32 v102, v9, v23 :: v_dual_mul_f32 v59, 0xbf65296c, v52
	v_mul_f32_e32 v94, 0xbeb8f4ab, v142
	v_dual_add_f32 v126, v27, v25 :: v_dual_mul_f32 v115, 0x3e3c28d5, v52
	s_delay_alu instid0(VALU_DEP_4) | instskip(SKIP_3) | instid1(VALU_DEP_4)
	v_dual_add_f32 v1, v42, v1 :: v_dual_mul_f32 v60, 0xbf7ee86f, v51
	v_mul_f32_e32 v61, 0xbf7ee86f, v50
	v_dual_add_f32 v101, v8, v22 :: v_dual_add_f32 v114, v17, v35
	v_mul_f32_e32 v112, 0xbf65296c, v48
	v_fmamk_f32 v43, v92, 0x3dbcf732, v60
	s_delay_alu instid0(VALU_DEP_4) | instskip(SKIP_2) | instid1(VALU_DEP_4)
	v_fma_f32 v44, 0x3dbcf732, v93, -v61
	v_mul_f32_e32 v64, 0xbf65296c, v49
	v_fmamk_f32 v41, v92, 0x3f3d2fb0, v54
	v_dual_mul_f32 v69, 0xbf4c4adb, v51 :: v_dual_add_f32 v2, v43, v2
	s_delay_alu instid0(VALU_DEP_3) | instskip(SKIP_4) | instid1(VALU_DEP_4)
	v_dual_add_f32 v3, v44, v3 :: v_dual_fmamk_f32 v40, v81, 0x3ee437d1, v64
	v_fma_f32 v43, 0x3ee437d1, v102, -v59
	v_mul_f32_e32 v66, 0xbf4c4adb, v52
	v_add_f32_e32 v0, v41, v0
	v_dual_fmamk_f32 v44, v101, 0xbf1a4643, v65 :: v_dual_add_f32 v103, v15, v29
	v_dual_add_f32 v40, v40, v4 :: v_dual_add_f32 v1, v43, v1
	s_delay_alu instid0(VALU_DEP_4) | instskip(SKIP_1) | instid1(VALU_DEP_4)
	v_fma_f32 v45, 0xbf1a4643, v102, -v66
	v_dual_mul_f32 v58, 0xbf65296c, v53 :: v_dual_sub_f32 v99, v28, v14
	v_dual_add_f32 v2, v44, v2 :: v_dual_mul_f32 v137, 0x3f763a35, v52
	s_delay_alu instid0(VALU_DEP_3) | instskip(NEXT) | instid1(VALU_DEP_3)
	v_add_f32_e32 v3, v45, v3
	v_fmamk_f32 v42, v101, 0x3ee437d1, v58
	v_fmamk_f32 v41, v92, 0xbf1a4643, v69
	v_mul_f32_e32 v63, 0xbf7ee86f, v99
	v_mul_f32_e32 v71, 0xbe3c28d5, v99
	s_delay_alu instid0(VALU_DEP_4) | instskip(NEXT) | instid1(VALU_DEP_4)
	v_dual_mul_f32 v83, 0x3f763a35, v141 :: v_dual_add_f32 v0, v42, v0
	v_add_f32_e32 v40, v41, v40
	s_delay_alu instid0(VALU_DEP_4) | instskip(SKIP_4) | instid1(VALU_DEP_4)
	v_fma_f32 v43, 0x3dbcf732, v103, -v63
	v_sub_f32_e32 v130, v29, v15
	v_fma_f32 v45, 0xbf7ba420, v103, -v71
	v_mul_f32_e32 v74, 0x3e3c28d5, v53
	v_sub_f32_e32 v139, v31, v13
	v_dual_add_f32 v1, v43, v1 :: v_dual_mul_f32 v80, 0x3f763a35, v130
	s_delay_alu instid0(VALU_DEP_4) | instskip(NEXT) | instid1(VALU_DEP_4)
	v_dual_add_f32 v3, v45, v3 :: v_dual_add_f32 v104, v14, v28
	v_dual_fmamk_f32 v41, v101, 0xbf7ba420, v74 :: v_dual_sub_f32 v138, v30, v12
	v_mul_f32_e32 v62, 0xbf7ee86f, v130
	v_add_f32_e32 v105, v12, v30
	s_delay_alu instid0(VALU_DEP_3)
	v_dual_mul_f32 v67, 0xbf763a35, v139 :: v_dual_add_f32 v40, v41, v40
	v_fmamk_f32 v41, v104, 0xbe8c1d8e, v80
	v_mul_f32_e32 v68, 0xbf763a35, v138
	v_dual_mul_f32 v76, 0x3f06c442, v138 :: v_dual_mul_f32 v75, 0x3f06c442, v139
	v_add_f32_e32 v109, v19, v33
	v_sub_f32_e32 v157, v35, v17
	s_delay_alu instid0(VALU_DEP_4) | instskip(SKIP_4) | instid1(VALU_DEP_4)
	v_fma_f32 v43, 0xbe8c1d8e, v106, -v68
	v_mul_f32_e32 v70, 0xbe3c28d5, v130
	v_fma_f32 v45, 0xbf59a7d5, v106, -v76
	v_fmamk_f32 v42, v104, 0x3dbcf732, v62
	v_dual_add_f32 v40, v41, v40 :: v_dual_mul_f32 v85, 0x3f2c7751, v139
	v_dual_add_f32 v1, v43, v1 :: v_dual_fmamk_f32 v44, v104, 0xbf7ba420, v70
	s_delay_alu instid0(VALU_DEP_3) | instskip(SKIP_2) | instid1(VALU_DEP_4)
	v_dual_add_f32 v3, v45, v3 :: v_dual_add_f32 v0, v42, v0
	v_fmamk_f32 v42, v105, 0xbe8c1d8e, v67
	v_dual_mul_f32 v78, 0xbf06c442, v157 :: v_dual_sub_f32 v161, v24, v26
	v_add_f32_e32 v2, v44, v2
	v_dual_fmamk_f32 v44, v105, 0xbf59a7d5, v75 :: v_dual_sub_f32 v153, v34, v16
	v_fmamk_f32 v41, v105, 0x3f3d2fb0, v85
	s_delay_alu instid0(VALU_DEP_4) | instskip(NEXT) | instid1(VALU_DEP_3)
	v_dual_mul_f32 v100, 0x3eb8f4ab, v161 :: v_dual_mul_f32 v121, 0x3eb8f4ab, v130
	v_add_f32_e32 v2, v44, v2
	v_dual_add_f32 v0, v42, v0 :: v_dual_mul_f32 v73, 0xbf4c4adb, v141
	s_delay_alu instid0(VALU_DEP_4)
	v_dual_add_f32 v40, v41, v40 :: v_dual_mul_f32 v79, 0xbf06c442, v153
	v_fmamk_f32 v41, v108, 0x3f6eb680, v94
	v_mul_f32_e32 v84, 0x3f65296c, v157
	v_fma_f32 v46, 0x3f6eb680, v126, -v100
	v_fmamk_f32 v44, v108, 0xbe8c1d8e, v77
	v_fma_f32 v43, 0xbf1a4643, v109, -v73
	v_dual_add_f32 v40, v41, v40 :: v_dual_mul_f32 v95, 0xbf7ee86f, v157
	s_delay_alu instid0(VALU_DEP_3)
	v_dual_fmamk_f32 v41, v111, 0x3ee437d1, v84 :: v_dual_add_f32 v2, v44, v2
	v_dual_sub_f32 v162, v25, v27 :: v_dual_mul_f32 v91, 0xbe3c28d5, v161
	v_fma_f32 v45, 0xbe8c1d8e, v109, -v83
	v_add_f32_e32 v1, v43, v1
	v_mul_f32_e32 v86, 0x3f65296c, v153
	v_fma_f32 v43, 0xbf59a7d5, v114, -v79
	v_mul_f32_e32 v72, 0xbf4c4adb, v142
	v_dual_add_f32 v2, v41, v2 :: v_dual_fmamk_f32 v41, v111, 0x3dbcf732, v95
	v_dual_add_f32 v124, v26, v24 :: v_dual_mul_f32 v87, 0xbe3c28d5, v162
	v_add_f32_e32 v3, v45, v3
	v_fma_f32 v44, 0x3ee437d1, v114, -v86
	s_delay_alu instid0(VALU_DEP_4) | instskip(NEXT) | instid1(VALU_DEP_4)
	v_dual_add_f32 v1, v43, v1 :: v_dual_add_f32 v40, v41, v40
	v_fmamk_f32 v41, v124, 0xbf7ba420, v87
	v_fmamk_f32 v42, v108, 0xbf1a4643, v72
	s_delay_alu instid0(VALU_DEP_4) | instskip(SKIP_2) | instid1(VALU_DEP_4)
	v_add_f32_e32 v3, v44, v3
	v_fma_f32 v44, 0xbf7ba420, v126, -v91
	v_mul_f32_e32 v107, 0xbf06c442, v162
	v_dual_mul_f32 v113, 0xbf4c4adb, v50 :: v_dual_add_f32 v0, v42, v0
	v_mul_f32_e32 v116, 0x3f763a35, v99
	s_delay_alu instid0(VALU_DEP_4) | instskip(SKIP_1) | instid1(VALU_DEP_4)
	v_add_f32_e32 v90, v44, v1
	v_fmamk_f32 v42, v111, 0xbf59a7d5, v78
	v_fma_f32 v43, 0xbf1a4643, v93, -v113
	v_mul_f32_e32 v123, 0xbe3c28d5, v51
	v_mul_f32_e32 v110, 0xbeb8f4ab, v141
	v_mul_f32_e32 v122, 0xbf7ee86f, v49
	v_add_f32_e32 v0, v42, v0
	v_fma_f32 v42, 0x3ee437d1, v82, -v112
	v_mul_f32_e32 v134, 0xbf7ee86f, v48
	v_mul_f32_e32 v118, 0xbf7ee86f, v153
	s_delay_alu instid0(VALU_DEP_4) | instskip(NEXT) | instid1(VALU_DEP_4)
	v_dual_mul_f32 v120, 0x3f763a35, v53 :: v_dual_add_f32 v89, v41, v0
	v_dual_add_f32 v42, v42, v5 :: v_dual_fmamk_f32 v41, v124, 0xbf59a7d5, v107
	v_mul_f32_e32 v117, 0x3f2c7751, v138
	v_mul_f32_e32 v135, 0xbe3c28d5, v50
	;; [unrolled: 1-line block ×3, first 2 shown]
	s_delay_alu instid0(VALU_DEP_4) | instskip(SKIP_4) | instid1(VALU_DEP_4)
	v_add_f32_e32 v42, v43, v42
	v_fma_f32 v43, 0xbf7ba420, v102, -v115
	v_fma_f32 v1, 0x3f3d2fb0, v106, -v117
	v_dual_mul_f32 v143, 0xbf763a35, v49 :: v_dual_mul_f32 v156, 0xbf763a35, v48
	v_dual_mul_f32 v128, 0xbf06c442, v142 :: v_dual_mul_f32 v131, 0xbf06c442, v141
	v_add_f32_e32 v42, v43, v42
	v_fma_f32 v43, 0xbe8c1d8e, v103, -v116
	v_dual_mul_f32 v145, 0x3f2c7751, v53 :: v_dual_mul_f32 v136, 0x3f2c7751, v162
	v_dual_add_f32 v3, v46, v3 :: v_dual_mul_f32 v146, 0xbf65296c, v130
	s_delay_alu instid0(VALU_DEP_3) | instskip(SKIP_3) | instid1(VALU_DEP_4)
	v_dual_mul_f32 v155, 0xbf65296c, v99 :: v_dual_add_f32 v0, v43, v42
	v_fma_f32 v42, 0x3f6eb680, v109, -v110
	v_fma_f32 v43, 0x3dbcf732, v114, -v118
	v_fmamk_f32 v46, v124, 0x3f3d2fb0, v136
	v_dual_mul_f32 v150, 0xbe3c28d5, v138 :: v_dual_add_f32 v1, v1, v0
	v_add_f32_e32 v0, v41, v40
	v_fmamk_f32 v40, v81, 0x3dbcf732, v122
	v_fmamk_f32 v41, v92, 0xbf7ba420, v123
	v_mul_f32_e32 v125, 0xbf65296c, v139
	v_add_f32_e32 v1, v42, v1
	v_fma_f32 v42, 0x3dbcf732, v82, -v134
	v_mul_f32_e32 v96, 0x3eb8f4ab, v162
	v_add_f32_e32 v40, v40, v4
	s_delay_alu instid0(VALU_DEP_4) | instskip(SKIP_1) | instid1(VALU_DEP_3)
	v_dual_mul_f32 v144, 0x3f06c442, v51 :: v_dual_add_f32 v1, v43, v1
	v_mul_f32_e32 v132, 0x3eb8f4ab, v99
	v_dual_fmamk_f32 v43, v104, 0x3f6eb680, v121 :: v_dual_add_f32 v40, v41, v40
	v_add_f32_e32 v41, v42, v5
	v_fmamk_f32 v45, v124, 0x3f6eb680, v96
	v_fma_f32 v42, 0xbf7ba420, v93, -v135
	v_dual_mul_f32 v147, 0x3f7ee86f, v142 :: v_dual_mul_f32 v154, 0x3f7ee86f, v141
	v_dual_mul_f32 v152, 0xbeb8f4ab, v153 :: v_dual_mul_f32 v173, 0xbeb8f4ab, v52
	s_delay_alu instid0(VALU_DEP_3) | instskip(SKIP_3) | instid1(VALU_DEP_3)
	v_dual_add_f32 v2, v45, v2 :: v_dual_add_f32 v41, v42, v41
	v_fma_f32 v42, 0xbe8c1d8e, v102, -v137
	v_mul_f32_e32 v171, 0xbf4c4adb, v48
	v_dual_mul_f32 v169, 0x3f763a35, v51 :: v_dual_mul_f32 v172, 0x3f763a35, v50
	v_dual_mul_f32 v174, 0xbf06c442, v99 :: v_dual_add_f32 v41, v42, v41
	v_fma_f32 v42, 0x3f6eb680, v103, -v132
	v_dual_mul_f32 v168, 0x3f7ee86f, v139 :: v_dual_mul_f32 v175, 0x3f7ee86f, v138
	s_delay_alu instid0(VALU_DEP_4) | instskip(SKIP_1) | instid1(VALU_DEP_4)
	v_fma_f32 v47, 0xbe8c1d8e, v93, -v172
	v_dual_mul_f32 v166, 0xbf06c442, v130 :: v_dual_mul_f32 v179, 0xbf06c442, v49
	v_add_f32_e32 v41, v42, v41
	v_fma_f32 v42, 0x3ee437d1, v106, -v129
	v_fmamk_f32 v44, v101, 0xbe8c1d8e, v120
	v_dual_mul_f32 v164, 0xbf2c7751, v142 :: v_dual_mul_f32 v177, 0xbf2c7751, v141
	s_delay_alu instid0(VALU_DEP_3) | instskip(NEXT) | instid1(VALU_DEP_3)
	v_dual_mul_f32 v180, 0xbf06c442, v48 :: v_dual_add_f32 v41, v42, v41
	v_dual_add_f32 v40, v44, v40 :: v_dual_mul_f32 v119, 0xbf06c442, v161
	v_fma_f32 v42, 0xbf59a7d5, v109, -v131
	v_mul_f32_e32 v176, 0xbe3c28d5, v153
	v_fma_f32 v181, 0xbf59a7d5, v81, -v179
	s_delay_alu instid0(VALU_DEP_4)
	v_add_f32_e32 v40, v43, v40
	v_fma_f32 v44, 0xbf59a7d5, v126, -v119
	v_add_f32_e32 v41, v42, v41
	v_fmamk_f32 v183, v82, 0xbf59a7d5, v180
	v_mul_f32_e32 v184, 0x3f65296c, v50
	v_dual_mul_f32 v186, 0xbf7ee86f, v53 :: v_dual_mul_f32 v187, 0xbf7ee86f, v52
	v_add_f32_e32 v1, v44, v1
	v_fma_f32 v44, 0xbe8c1d8e, v82, -v156
	v_fmamk_f32 v43, v105, 0x3ee437d1, v125
	v_fmamk_f32 v185, v93, 0x3ee437d1, v184
	v_mul_f32_e32 v188, 0x3f4c4adb, v99
	v_mul_f32_e32 v170, 0xbeb8f4ab, v53
	v_add_f32_e32 v44, v44, v5
	v_dual_add_f32 v40, v43, v40 :: v_dual_fmamk_f32 v43, v108, 0xbf59a7d5, v128
	v_mul_f32_e32 v127, 0x3f4c4adb, v157
	v_mul_f32_e32 v192, 0xbeb8f4ab, v138
	;; [unrolled: 1-line block ×4, first 2 shown]
	v_add_f32_e32 v40, v43, v40
	v_fmamk_f32 v43, v111, 0xbf1a4643, v127
	v_mul_f32_e32 v133, 0x3f4c4adb, v153
	v_fma_f32 v191, 0x3ee437d1, v126, -v178
	v_dual_add_f32 v183, v183, v5 :: v_dual_mul_f32 v182, 0x3f65296c, v51
	s_delay_alu instid0(VALU_DEP_4) | instskip(NEXT) | instid1(VALU_DEP_4)
	v_add_f32_e32 v40, v43, v40
	v_fma_f32 v42, 0xbf1a4643, v114, -v133
	v_fmamk_f32 v43, v81, 0xbe8c1d8e, v143
	v_mul_f32_e32 v158, 0x3f06c442, v50
	v_fma_f32 v184, 0x3ee437d1, v93, -v184
	s_delay_alu instid0(VALU_DEP_4) | instskip(NEXT) | instid1(VALU_DEP_4)
	v_dual_mul_f32 v190, 0xbeb8f4ab, v139 :: v_dual_add_f32 v41, v42, v41
	v_dual_add_f32 v42, v43, v4 :: v_dual_fmamk_f32 v43, v92, 0xbf59a7d5, v144
	s_delay_alu instid0(VALU_DEP_4) | instskip(SKIP_1) | instid1(VALU_DEP_4)
	v_fma_f32 v45, 0xbf59a7d5, v93, -v158
	v_mul_f32_e32 v159, 0x3f2c7751, v52
	v_fma_f32 v193, 0x3f6eb680, v105, -v190
	v_mul_f32_e32 v48, 0xbe3c28d5, v48
	s_delay_alu instid0(VALU_DEP_4) | instskip(NEXT) | instid1(VALU_DEP_4)
	v_dual_add_f32 v42, v43, v42 :: v_dual_add_f32 v43, v45, v44
	v_fma_f32 v45, 0x3f3d2fb0, v102, -v159
	v_mul_f32_e32 v149, 0xbeb8f4ab, v157
	v_mul_f32_e32 v52, 0xbf06c442, v52
	;; [unrolled: 1-line block ×4, first 2 shown]
	v_add_f32_e32 v43, v45, v43
	v_fma_f32 v45, 0x3ee437d1, v103, -v155
	s_clause 0x1
	s_load_b64 s[4:5], s[0:1], 0x20
	s_load_b64 s[2:3], s[0:1], 0x8
	global_wb scope:SCOPE_SE
	s_wait_kmcnt 0x0
	s_barrier_signal -1
	s_barrier_wait -1
	v_add_f32_e32 v43, v45, v43
	v_fma_f32 v45, 0xbf7ba420, v106, -v150
	global_inv scope:SCOPE_SE
	v_mul_f32_e32 v163, 0xbe3c28d5, v157
	v_fmamk_f32 v195, v106, 0x3f6eb680, v192
	v_mul_f32_e32 v51, 0x3eb8f4ab, v51
	v_add_f32_e32 v43, v45, v43
	v_fma_f32 v45, 0x3dbcf732, v109, -v154
	v_mul_f32_e32 v99, 0x3f2c7751, v99
	v_mul_f32_e32 v53, 0xbf06c442, v53
	s_delay_alu instid0(VALU_DEP_3) | instskip(SKIP_1) | instid1(VALU_DEP_1)
	v_add_f32_e32 v43, v45, v43
	v_fma_f32 v45, 0x3f6eb680, v114, -v152
	v_dual_add_f32 v43, v45, v43 :: v_dual_mul_f32 v140, 0x3f2c7751, v161
	v_fma_f32 v45, 0xbf1a4643, v82, -v171
	s_delay_alu instid0(VALU_DEP_1) | instskip(NEXT) | instid1(VALU_DEP_3)
	v_dual_add_f32 v45, v45, v5 :: v_dual_add_f32 v40, v46, v40
	v_fma_f32 v46, 0x3f3d2fb0, v126, -v140
	s_delay_alu instid0(VALU_DEP_2) | instskip(SKIP_1) | instid1(VALU_DEP_2)
	v_dual_fmamk_f32 v44, v101, 0x3f3d2fb0, v145 :: v_dual_add_f32 v45, v47, v45
	v_fma_f32 v47, 0x3f6eb680, v102, -v173
	v_dual_add_f32 v41, v46, v41 :: v_dual_add_f32 v42, v44, v42
	v_fmamk_f32 v44, v104, 0x3ee437d1, v146
	s_delay_alu instid0(VALU_DEP_3) | instskip(SKIP_2) | instid1(VALU_DEP_4)
	v_dual_mul_f32 v148, 0xbe3c28d5, v139 :: v_dual_add_f32 v45, v47, v45
	v_fma_f32 v47, 0xbf59a7d5, v103, -v174
	v_fmamk_f32 v46, v92, 0xbe8c1d8e, v169
	v_dual_add_f32 v42, v44, v42 :: v_dual_mul_f32 v139, 0xbf4c4adb, v139
	s_delay_alu instid0(VALU_DEP_3) | instskip(SKIP_1) | instid1(VALU_DEP_1)
	v_add_f32_e32 v45, v47, v45
	v_fma_f32 v47, 0x3dbcf732, v106, -v175
	v_dual_fmamk_f32 v44, v105, 0xbf7ba420, v148 :: v_dual_add_f32 v45, v47, v45
	v_fma_f32 v47, 0x3f3d2fb0, v109, -v177
	s_delay_alu instid0(VALU_DEP_2) | instskip(NEXT) | instid1(VALU_DEP_2)
	v_add_f32_e32 v42, v44, v42
	v_dual_fmamk_f32 v44, v108, 0x3dbcf732, v147 :: v_dual_add_f32 v45, v47, v45
	v_fma_f32 v47, 0xbf7ba420, v114, -v176
	s_delay_alu instid0(VALU_DEP_2) | instskip(SKIP_1) | instid1(VALU_DEP_3)
	v_add_f32_e32 v42, v44, v42
	v_fmamk_f32 v44, v111, 0x3f6eb680, v149
	v_add_f32_e32 v45, v47, v45
	v_add_f32_e32 v47, v185, v183
	s_delay_alu instid0(VALU_DEP_3) | instskip(SKIP_2) | instid1(VALU_DEP_3)
	v_dual_fmamk_f32 v183, v102, 0x3dbcf732, v187 :: v_dual_add_f32 v42, v44, v42
	v_fmamk_f32 v44, v81, 0xbf1a4643, v167
	v_mul_f32_e32 v185, 0x3f4c4adb, v130
	v_dual_mul_f32 v130, 0x3f2c7751, v130 :: v_dual_add_f32 v47, v183, v47
	s_delay_alu instid0(VALU_DEP_3) | instskip(NEXT) | instid1(VALU_DEP_1)
	v_dual_mul_f32 v151, 0xbf4c4adb, v162 :: v_dual_add_f32 v44, v44, v4
	v_dual_fmamk_f32 v183, v103, 0xbf1a4643, v188 :: v_dual_fmamk_f32 v160, v124, 0xbf1a4643, v151
	s_delay_alu instid0(VALU_DEP_2) | instskip(NEXT) | instid1(VALU_DEP_2)
	v_add_f32_e32 v44, v46, v44
	v_dual_fmamk_f32 v46, v101, 0x3f6eb680, v170 :: v_dual_add_f32 v183, v183, v47
	s_delay_alu instid0(VALU_DEP_3) | instskip(SKIP_1) | instid1(VALU_DEP_3)
	v_dual_add_f32 v47, v191, v45 :: v_dual_add_f32 v42, v160, v42
	v_mul_f32_e32 v160, 0xbf4c4adb, v161
	v_add_f32_e32 v44, v46, v44
	v_fmamk_f32 v46, v104, 0xbf59a7d5, v166
	v_fma_f32 v45, 0xbf7ba420, v108, -v194
	v_fmac_f32_e32 v179, 0xbf59a7d5, v81
	v_fma_f32 v165, 0xbf1a4643, v126, -v160
	v_fmac_f32_e32 v194, 0xbf7ba420, v108
	s_delay_alu instid0(VALU_DEP_3) | instskip(NEXT) | instid1(VALU_DEP_3)
	v_add_f32_e32 v179, v179, v4
	v_add_f32_e32 v43, v165, v43
	v_dual_mul_f32 v165, 0x3f65296c, v162 :: v_dual_add_f32 v44, v46, v44
	v_fmamk_f32 v46, v105, 0x3dbcf732, v168
	s_delay_alu instid0(VALU_DEP_1) | instskip(SKIP_1) | instid1(VALU_DEP_1)
	v_dual_fmamk_f32 v189, v124, 0x3ee437d1, v165 :: v_dual_add_f32 v44, v46, v44
	v_fmamk_f32 v46, v108, 0x3f3d2fb0, v164
	v_add_f32_e32 v44, v46, v44
	v_fmamk_f32 v46, v111, 0xbf7ba420, v163
	s_delay_alu instid0(VALU_DEP_1) | instskip(SKIP_3) | instid1(VALU_DEP_2)
	v_add_f32_e32 v44, v46, v44
	v_add_f32_e32 v46, v181, v4
	v_fma_f32 v181, 0x3ee437d1, v92, -v182
	v_fmac_f32_e32 v182, 0x3ee437d1, v92
	v_add_f32_e32 v46, v181, v46
	v_fma_f32 v181, 0x3dbcf732, v101, -v186
	s_delay_alu instid0(VALU_DEP_3) | instskip(SKIP_2) | instid1(VALU_DEP_4)
	v_add_f32_e32 v179, v182, v179
	v_fma_f32 v182, 0x3dbcf732, v102, -v187
	v_mul_f32_e32 v187, 0xbf763a35, v162
	v_add_f32_e32 v46, v181, v46
	v_fma_f32 v181, 0xbf1a4643, v104, -v185
	v_fmac_f32_e32 v185, 0xbf1a4643, v104
	s_delay_alu instid0(VALU_DEP_2) | instskip(SKIP_2) | instid1(VALU_DEP_3)
	v_add_f32_e32 v181, v181, v46
	v_dual_add_f32 v46, v189, v44 :: v_dual_mul_f32 v189, 0x3f2c7751, v157
	v_mul_f32_e32 v157, 0xbf763a35, v157
	v_dual_add_f32 v44, v193, v181 :: v_dual_add_f32 v181, v195, v183
	s_delay_alu instid0(VALU_DEP_3) | instskip(SKIP_2) | instid1(VALU_DEP_4)
	v_fma_f32 v191, 0x3f3d2fb0, v111, -v189
	v_fmac_f32_e32 v189, 0x3f3d2fb0, v111
	v_fmac_f32_e32 v186, 0x3dbcf732, v101
	v_dual_mul_f32 v183, 0xbe3c28d5, v141 :: v_dual_add_f32 v44, v45, v44
	v_mul_f32_e32 v141, 0x3f65296c, v141
	s_delay_alu instid0(VALU_DEP_3) | instskip(SKIP_1) | instid1(VALU_DEP_4)
	v_add_f32_e32 v179, v186, v179
	v_fma_f32 v45, 0xbf59a7d5, v82, -v180
	v_fmamk_f32 v180, v109, 0xbf7ba420, v183
	v_dual_add_f32 v44, v191, v44 :: v_dual_mul_f32 v191, 0xbf763a35, v161
	s_delay_alu instid0(VALU_DEP_4) | instskip(NEXT) | instid1(VALU_DEP_4)
	v_add_f32_e32 v179, v185, v179
	v_add_f32_e32 v45, v45, v5
	s_delay_alu instid0(VALU_DEP_4) | instskip(SKIP_3) | instid1(VALU_DEP_3)
	v_add_f32_e32 v180, v180, v181
	v_mul_f32_e32 v181, 0x3f2c7751, v153
	v_fmamk_f32 v186, v126, 0xbe8c1d8e, v191
	v_fma_f32 v185, 0x3f6eb680, v106, -v192
	v_dual_add_f32 v45, v184, v45 :: v_dual_fmamk_f32 v184, v114, 0x3f3d2fb0, v181
	v_fma_f32 v181, 0x3f3d2fb0, v114, -v181
	s_delay_alu instid0(VALU_DEP_2) | instskip(SKIP_1) | instid1(VALU_DEP_4)
	v_add_f32_e32 v45, v182, v45
	v_fma_f32 v182, 0xbf1a4643, v103, -v188
	v_add_f32_e32 v180, v184, v180
	v_fma_f32 v184, 0xbe8c1d8e, v124, -v187
	s_delay_alu instid0(VALU_DEP_3) | instskip(NEXT) | instid1(VALU_DEP_3)
	v_dual_fmac_f32 v187, 0xbe8c1d8e, v124 :: v_dual_add_f32 v182, v182, v45
	v_add_f32_e32 v45, v186, v180
	s_delay_alu instid0(VALU_DEP_3) | instskip(NEXT) | instid1(VALU_DEP_3)
	v_add_f32_e32 v44, v184, v44
	v_add_f32_e32 v180, v185, v182
	v_fma_f32 v182, 0xbf7ba420, v109, -v183
	v_fma_f32 v183, 0xbf7ba420, v81, -v49
	v_fmac_f32_e32 v49, 0xbf7ba420, v81
	v_fma_f32 v185, 0xbf59a7d5, v101, -v53
	s_delay_alu instid0(VALU_DEP_4) | instskip(NEXT) | instid1(VALU_DEP_4)
	v_dual_fmac_f32 v53, 0xbf59a7d5, v101 :: v_dual_add_f32 v180, v182, v180
	v_add_f32_e32 v182, v183, v4
	v_fma_f32 v183, 0x3f6eb680, v92, -v51
	v_dual_mul_f32 v50, 0x3eb8f4ab, v50 :: v_dual_add_f32 v49, v49, v4
	v_fmamk_f32 v184, v82, 0xbf7ba420, v48
	v_add_f32_e32 v180, v181, v180
	s_delay_alu instid0(VALU_DEP_4) | instskip(NEXT) | instid1(VALU_DEP_1)
	v_dual_add_f32 v182, v183, v182 :: v_dual_fmac_f32 v51, 0x3f6eb680, v92
	v_dual_add_f32 v183, v184, v5 :: v_dual_add_f32 v182, v185, v182
	v_fma_f32 v185, 0x3f3d2fb0, v104, -v130
	v_fmac_f32_e32 v130, 0x3f3d2fb0, v104
	s_delay_alu instid0(VALU_DEP_4) | instskip(SKIP_1) | instid1(VALU_DEP_4)
	v_dual_fmamk_f32 v184, v93, 0x3f6eb680, v50 :: v_dual_add_f32 v49, v51, v49
	v_mul_f32_e32 v51, 0x3f65296c, v142
	v_add_f32_e32 v182, v185, v182
	v_fma_f32 v142, 0xbe8c1d8e, v126, -v191
	s_delay_alu instid0(VALU_DEP_4)
	v_dual_add_f32 v183, v184, v183 :: v_dual_fmamk_f32 v184, v102, 0xbf59a7d5, v52
	v_add_f32_e32 v49, v53, v49
	v_fma_f32 v53, 0x3ee437d1, v108, -v51
	v_fmac_f32_e32 v51, 0x3ee437d1, v108
	v_fma_f32 v50, 0x3f6eb680, v93, -v50
	v_add_f32_e32 v181, v184, v183
	v_fmamk_f32 v183, v103, 0x3f3d2fb0, v99
	v_add_f32_e32 v49, v130, v49
	s_delay_alu instid0(VALU_DEP_2) | instskip(SKIP_3) | instid1(VALU_DEP_3)
	v_add_f32_e32 v181, v183, v181
	v_fmac_f32_e32 v190, 0x3f6eb680, v105
	v_fma_f32 v183, 0xbf1a4643, v105, -v139
	v_fmac_f32_e32 v139, 0xbf1a4643, v105
	v_dual_mul_f32 v138, 0xbf4c4adb, v138 :: v_dual_add_f32 v179, v190, v179
	s_delay_alu instid0(VALU_DEP_3) | instskip(NEXT) | instid1(VALU_DEP_2)
	v_add_f32_e32 v182, v183, v182
	v_dual_add_f32 v49, v139, v49 :: v_dual_fmamk_f32 v184, v106, 0xbf1a4643, v138
	v_mul_f32_e32 v139, 0x3f7ee86f, v162
	s_delay_alu instid0(VALU_DEP_4) | instskip(NEXT) | instid1(VALU_DEP_4)
	v_add_f32_e32 v179, v194, v179
	v_add_f32_e32 v53, v53, v182
	s_delay_alu instid0(VALU_DEP_4) | instskip(SKIP_3) | instid1(VALU_DEP_2)
	v_add_f32_e32 v49, v51, v49
	v_add_f32_e32 v181, v184, v181
	v_fma_f32 v48, 0xbf7ba420, v82, -v48
	v_fma_f32 v52, 0xbf59a7d5, v102, -v52
	v_dual_add_f32 v179, v189, v179 :: v_dual_add_f32 v48, v48, v5
	s_delay_alu instid0(VALU_DEP_1) | instskip(NEXT) | instid1(VALU_DEP_2)
	v_add_f32_e32 v50, v50, v48
	v_add_f32_e32 v48, v187, v179
	v_fma_f32 v179, 0xbe8c1d8e, v111, -v157
	s_delay_alu instid0(VALU_DEP_3) | instskip(SKIP_2) | instid1(VALU_DEP_2)
	v_dual_fmac_f32 v157, 0xbe8c1d8e, v111 :: v_dual_add_f32 v50, v52, v50
	v_fma_f32 v52, 0x3f3d2fb0, v103, -v99
	v_fmamk_f32 v99, v109, 0x3ee437d1, v141
	v_dual_add_f32 v53, v179, v53 :: v_dual_add_f32 v50, v52, v50
	v_fma_f32 v52, 0xbf1a4643, v106, -v138
	s_delay_alu instid0(VALU_DEP_1) | instskip(SKIP_1) | instid1(VALU_DEP_1)
	v_dual_add_f32 v99, v99, v181 :: v_dual_add_f32 v50, v52, v50
	v_fma_f32 v52, 0x3ee437d1, v109, -v141
	v_dual_mul_f32 v141, 0x3f7ee86f, v161 :: v_dual_add_f32 v50, v52, v50
	v_mul_f32_e32 v130, 0xbf763a35, v153
	v_fma_f32 v52, 0x3dbcf732, v124, -v139
	v_fmac_f32_e32 v139, 0x3dbcf732, v124
	s_delay_alu instid0(VALU_DEP_3) | instskip(NEXT) | instid1(VALU_DEP_1)
	v_fma_f32 v51, 0xbe8c1d8e, v114, -v130
	v_dual_add_f32 v51, v51, v50 :: v_dual_fmamk_f32 v138, v114, 0xbe8c1d8e, v130
	v_fmamk_f32 v130, v126, 0x3dbcf732, v141
	v_fma_f32 v141, 0x3dbcf732, v126, -v141
	s_delay_alu instid0(VALU_DEP_1) | instskip(NEXT) | instid1(VALU_DEP_4)
	v_add_f32_e32 v51, v141, v51
	v_dual_add_f32 v99, v138, v99 :: v_dual_add_f32 v138, v157, v49
	v_dual_add_f32 v49, v142, v180 :: v_dual_add_f32 v52, v52, v53
	s_delay_alu instid0(VALU_DEP_2)
	v_dual_add_f32 v53, v130, v99 :: v_dual_add_f32 v50, v139, v138
	v_mul_lo_u16 v99, v98, 17
	s_and_saveexec_b32 s0, vcc_lo
	s_cbranch_execz .LBB0_7
; %bb.6:
	v_mul_f32_e32 v130, 0x3f6eb680, v81
	v_mul_f32_e32 v138, 0x3f6eb680, v82
	v_dual_mul_f32 v139, 0x3f3d2fb0, v81 :: v_dual_mul_f32 v180, 0x3f3d2fb0, v92
	v_dual_mul_f32 v141, 0x3f3d2fb0, v82 :: v_dual_mul_f32 v198, 0x3f3d2fb0, v101
	;; [unrolled: 1-line block ×7, first 2 shown]
	v_mul_f32_e32 v181, 0x3f3d2fb0, v93
	v_dual_mul_f32 v184, 0xbf1a4643, v92 :: v_dual_mul_f32 v185, 0xbf1a4643, v93
	v_dual_mul_f32 v186, 0xbf7ba420, v92 :: v_dual_mul_f32 v187, 0xbf7ba420, v93
	s_delay_alu instid0(VALU_DEP_4) | instskip(SKIP_2) | instid1(VALU_DEP_3)
	v_add_f32_e32 v82, v171, v82
	v_dual_mul_f32 v188, 0xbf59a7d5, v92 :: v_dual_mul_f32 v189, 0xbf59a7d5, v93
	v_mul_f32_e32 v92, 0xbe8c1d8e, v92
	v_dual_mul_f32 v199, 0x3f3d2fb0, v102 :: v_dual_add_f32 v82, v82, v5
	v_mul_f32_e32 v183, 0x3dbcf732, v93
	v_mul_f32_e32 v93, 0xbe8c1d8e, v93
	v_dual_mul_f32 v190, 0x3ee437d1, v101 :: v_dual_mul_f32 v191, 0x3ee437d1, v102
	v_dual_mul_f32 v192, 0xbf1a4643, v101 :: v_dual_mul_f32 v193, 0xbf1a4643, v102
	;; [unrolled: 1-line block ×4, first 2 shown]
	v_dual_mul_f32 v102, 0x3f6eb680, v102 :: v_dual_add_f32 v93, v172, v93
	v_dual_mul_f32 v202, 0xbf7ba420, v104 :: v_dual_mul_f32 v203, 0xbf7ba420, v103
	v_dual_mul_f32 v204, 0xbe8c1d8e, v104 :: v_dual_mul_f32 v205, 0xbe8c1d8e, v103
	;; [unrolled: 1-line block ×4, first 2 shown]
	v_mul_f32_e32 v104, 0xbf59a7d5, v104
	v_add_f32_e32 v82, v93, v82
	v_add_f32_e32 v93, v173, v102
	v_mul_f32_e32 v201, 0x3dbcf732, v103
	v_dual_mul_f32 v103, 0xbf59a7d5, v103 :: v_dual_mul_f32 v210, 0xbf59a7d5, v105
	v_sub_f32_e32 v81, v81, v167
	s_delay_alu instid0(VALU_DEP_4) | instskip(SKIP_1) | instid1(VALU_DEP_4)
	v_add_f32_e32 v82, v93, v82
	v_dual_mul_f32 v211, 0x3f3d2fb0, v106 :: v_dual_sub_f32 v92, v92, v169
	v_dual_add_f32 v93, v174, v103 :: v_dual_mul_f32 v174, 0x3ee437d1, v106
	s_delay_alu instid0(VALU_DEP_4) | instskip(SKIP_1) | instid1(VALU_DEP_3)
	v_add_f32_e32 v81, v81, v4
	v_mul_f32_e32 v173, 0x3f3d2fb0, v105
	v_dual_mul_f32 v101, 0x3f6eb680, v101 :: v_dual_add_f32 v82, v93, v82
	v_dual_mul_f32 v172, 0xbe8c1d8e, v105 :: v_dual_mul_f32 v209, 0xbe8c1d8e, v106
	s_delay_alu instid0(VALU_DEP_4) | instskip(SKIP_3) | instid1(VALU_DEP_4)
	v_dual_add_f32 v81, v92, v81 :: v_dual_mul_f32 v92, 0x3ee437d1, v126
	v_mul_f32_e32 v103, 0x3dbcf732, v106
	v_mul_f32_e32 v213, 0xbf7ba420, v105
	v_dual_add_f32 v158, v158, v189 :: v_dual_mul_f32 v215, 0x3f6eb680, v108
	v_add_f32_e32 v92, v178, v92
	s_delay_alu instid0(VALU_DEP_4) | instskip(SKIP_3) | instid1(VALU_DEP_4)
	v_dual_mul_f32 v102, 0xbf59a7d5, v106 :: v_dual_add_f32 v93, v175, v103
	v_mul_f32_e32 v103, 0x3f3d2fb0, v109
	v_dual_mul_f32 v175, 0xbf1a4643, v108 :: v_dual_mul_f32 v214, 0xbf1a4643, v109
	v_dual_mul_f32 v167, 0xbe8c1d8e, v109 :: v_dual_sub_f32 v104, v104, v166
	v_add_f32_e32 v82, v93, v82
	s_delay_alu instid0(VALU_DEP_4) | instskip(SKIP_4) | instid1(VALU_DEP_4)
	v_dual_mul_f32 v212, 0x3ee437d1, v105 :: v_dual_add_f32 v93, v177, v103
	v_mul_f32_e32 v177, 0xbf7ba420, v114
	v_mul_f32_e32 v105, 0x3dbcf732, v105
	;; [unrolled: 1-line block ×4, first 2 shown]
	v_dual_add_f32 v82, v93, v82 :: v_dual_add_f32 v93, v176, v177
	v_mul_f32_e32 v176, 0xbf59a7d5, v108
	v_mul_f32_e32 v103, 0xbe8c1d8e, v108
	v_dual_sub_f32 v105, v105, v168 :: v_dual_mul_f32 v168, 0xbf1a4643, v111
	s_delay_alu instid0(VALU_DEP_4) | instskip(SKIP_3) | instid1(VALU_DEP_3)
	v_add_f32_e32 v82, v93, v82
	v_sub_f32_e32 v93, v101, v170
	v_mul_f32_e32 v101, 0x3dbcf732, v108
	v_dual_mul_f32 v108, 0x3f3d2fb0, v108 :: v_dual_add_f32 v159, v159, v199
	v_dual_mul_f32 v106, 0xbf7ba420, v106 :: v_dual_add_f32 v81, v93, v81
	v_add_f32_e32 v93, v156, v179
	v_mul_f32_e32 v169, 0x3f6eb680, v109
	v_dual_mul_f32 v177, 0xbf59a7d5, v109 :: v_dual_mul_f32 v170, 0xbf59a7d5, v111
	s_delay_alu instid0(VALU_DEP_4) | instskip(NEXT) | instid1(VALU_DEP_4)
	v_add_f32_e32 v81, v104, v81
	v_add_f32_e32 v93, v93, v5
	v_dual_mul_f32 v109, 0x3dbcf732, v109 :: v_dual_sub_f32 v144, v188, v144
	v_dual_mul_f32 v179, 0x3dbcf732, v111 :: v_dual_sub_f32 v108, v108, v164
	s_delay_alu instid0(VALU_DEP_3) | instskip(SKIP_2) | instid1(VALU_DEP_3)
	v_dual_add_f32 v93, v158, v93 :: v_dual_mul_f32 v188, 0xbf59a7d5, v124
	v_dual_mul_f32 v158, 0xbf1a4643, v114 :: v_dual_add_f32 v155, v155, v208
	v_dual_mul_f32 v164, 0xbf59a7d5, v126 :: v_dual_add_f32 v105, v105, v81
	;; [unrolled: 1-line block ×3, first 2 shown]
	v_mul_f32_e32 v189, 0x3f6eb680, v111
	v_sub_f32_e32 v93, v162, v143
	v_dual_sub_f32 v145, v198, v145 :: v_dual_mul_f32 v198, 0xbf1a4643, v124
	s_delay_alu instid0(VALU_DEP_4)
	v_add_f32_e32 v155, v155, v81
	v_add_f32_e32 v81, v92, v82
	;; [unrolled: 1-line block ×3, first 2 shown]
	v_mul_f32_e32 v159, 0xbf7ba420, v126
	v_mul_f32_e32 v156, 0x3ee437d1, v111
	;; [unrolled: 1-line block ×4, first 2 shown]
	v_dual_add_f32 v82, v82, v155 :: v_dual_add_f32 v93, v93, v4
	v_dual_mul_f32 v143, 0x3f6eb680, v124 :: v_dual_mul_f32 v162, 0x3f6eb680, v126
	v_add_f32_e32 v112, v112, v153
	v_add_f32_e32 v113, v113, v185
	s_delay_alu instid0(VALU_DEP_4)
	v_add_f32_e32 v93, v144, v93
	v_mul_f32_e32 v111, 0xbf7ba420, v111
	v_mul_f32_e32 v144, 0x3f3d2fb0, v126
	;; [unrolled: 1-line block ×3, first 2 shown]
	v_add_f32_e32 v112, v112, v5
	v_dual_add_f32 v92, v145, v93 :: v_dual_sub_f32 v93, v207, v146
	v_dual_mul_f32 v199, 0xbf7ba420, v124 :: v_dual_sub_f32 v106, v111, v163
	v_mul_f32_e32 v124, 0x3ee437d1, v124
	s_delay_alu instid0(VALU_DEP_4) | instskip(NEXT) | instid1(VALU_DEP_4)
	v_add_f32_e32 v112, v113, v112
	v_add_f32_e32 v92, v93, v92
	v_sub_f32_e32 v93, v213, v148
	v_add_f32_e32 v113, v115, v195
	v_sub_f32_e32 v111, v124, v165
	v_dual_sub_f32 v69, v184, v69 :: v_dual_sub_f32 v64, v142, v64
	v_add_f32_e32 v61, v61, v183
	v_add_f32_e32 v92, v93, v92
	v_sub_f32_e32 v93, v101, v147
	v_add_f32_e32 v105, v108, v105
	v_add_f32_e32 v108, v154, v109
	v_dual_add_f32 v112, v113, v112 :: v_dual_add_f32 v113, v116, v205
	s_delay_alu instid0(VALU_DEP_4) | instskip(SKIP_1) | instid1(VALU_DEP_4)
	v_add_f32_e32 v92, v93, v92
	v_add_f32_e32 v104, v118, v104
	;; [unrolled: 1-line block ×3, first 2 shown]
	v_dual_add_f32 v108, v152, v114 :: v_dual_add_f32 v105, v106, v105
	v_add_f32_e32 v106, v134, v161
	v_sub_f32_e32 v114, v157, v122
	s_delay_alu instid0(VALU_DEP_3) | instskip(NEXT) | instid1(VALU_DEP_3)
	v_dual_sub_f32 v109, v189, v149 :: v_dual_add_f32 v82, v108, v82
	v_dual_add_f32 v108, v160, v126 :: v_dual_add_f32 v101, v106, v5
	v_add_f32_e32 v106, v135, v187
	v_sub_f32_e32 v74, v194, v74
	v_add_f32_e32 v6, v6, v4
	v_dual_sub_f32 v60, v182, v60 :: v_dual_add_f32 v7, v7, v5
	s_delay_alu instid0(VALU_DEP_4) | instskip(SKIP_4) | instid1(VALU_DEP_4)
	v_add_f32_e32 v101, v106, v101
	v_dual_add_f32 v106, v137, v197 :: v_dual_add_f32 v93, v108, v82
	v_add_f32_e32 v82, v109, v92
	v_sub_f32_e32 v108, v186, v123
	v_sub_f32_e32 v109, v198, v151
	v_add_f32_e32 v92, v106, v101
	v_dual_add_f32 v106, v114, v4 :: v_dual_add_f32 v101, v132, v171
	v_add_f32_e32 v114, v133, v158
	v_dual_add_f32 v6, v20, v6 :: v_dual_add_f32 v57, v57, v141
	s_delay_alu instid0(VALU_DEP_3) | instskip(SKIP_2) | instid1(VALU_DEP_4)
	v_add_f32_e32 v106, v108, v106
	v_sub_f32_e32 v108, v196, v120
	v_dual_add_f32 v66, v66, v193 :: v_dual_add_f32 v7, v21, v7
	v_add_f32_e32 v6, v22, v6
	v_sub_f32_e32 v20, v103, v77
	s_delay_alu instid0(VALU_DEP_4)
	v_add_f32_e32 v106, v108, v106
	v_sub_f32_e32 v108, v206, v121
	v_add_f32_e32 v92, v101, v92
	v_add_f32_e32 v101, v129, v174
	;; [unrolled: 1-line block ×4, first 2 shown]
	v_sub_f32_e32 v22, v156, v84
	s_delay_alu instid0(VALU_DEP_4) | instskip(NEXT) | instid1(VALU_DEP_4)
	v_dual_add_f32 v92, v101, v92 :: v_dual_add_f32 v101, v131, v177
	v_add_f32_e32 v7, v29, v7
	s_delay_alu instid0(VALU_DEP_2) | instskip(SKIP_2) | instid1(VALU_DEP_3)
	v_dual_add_f32 v101, v101, v92 :: v_dual_add_f32 v106, v108, v106
	v_sub_f32_e32 v108, v212, v125
	v_add_f32_e32 v92, v109, v82
	v_dual_add_f32 v109, v117, v211 :: v_dual_add_f32 v82, v114, v101
	v_add_f32_e32 v7, v31, v7
	s_delay_alu instid0(VALU_DEP_4) | instskip(NEXT) | instid1(VALU_DEP_2)
	v_dual_add_f32 v101, v108, v106 :: v_dual_add_f32 v108, v113, v112
	v_dual_sub_f32 v106, v176, v128 :: v_dual_add_f32 v7, v33, v7
	s_delay_alu instid0(VALU_DEP_2) | instskip(NEXT) | instid1(VALU_DEP_2)
	v_dual_add_f32 v108, v109, v108 :: v_dual_add_f32 v109, v110, v169
	v_dual_add_f32 v110, v64, v4 :: v_dual_add_f32 v101, v106, v101
	s_delay_alu instid0(VALU_DEP_3) | instskip(NEXT) | instid1(VALU_DEP_2)
	v_add_f32_e32 v7, v35, v7
	v_dual_add_f32 v69, v69, v110 :: v_dual_add_f32 v112, v140, v144
	s_delay_alu instid0(VALU_DEP_2) | instskip(NEXT) | instid1(VALU_DEP_2)
	v_add_f32_e32 v7, v25, v7
	v_dual_add_f32 v69, v74, v69 :: v_dual_sub_f32 v74, v204, v80
	v_sub_f32_e32 v106, v168, v127
	v_add_f32_e32 v80, v57, v5
	s_delay_alu instid0(VALU_DEP_4) | instskip(NEXT) | instid1(VALU_DEP_4)
	v_dual_add_f32 v64, v112, v82 :: v_dual_add_f32 v7, v27, v7
	v_add_f32_e32 v69, v74, v69
	v_sub_f32_e32 v74, v173, v85
	s_delay_alu instid0(VALU_DEP_4) | instskip(SKIP_1) | instid1(VALU_DEP_3)
	v_dual_add_f32 v61, v61, v80 :: v_dual_add_f32 v82, v106, v101
	v_add_f32_e32 v101, v109, v108
	v_dual_sub_f32 v106, v208, v136 :: v_dual_add_f32 v69, v74, v69
	s_delay_alu instid0(VALU_DEP_3)
	v_dual_add_f32 v61, v66, v61 :: v_dual_sub_f32 v74, v215, v94
	v_sub_f32_e32 v56, v139, v56
	v_add_f32_e32 v66, v71, v203
	v_add_f32_e32 v7, v17, v7
	;; [unrolled: 1-line block ×4, first 2 shown]
	s_delay_alu instid0(VALU_DEP_4) | instskip(NEXT) | instid1(VALU_DEP_4)
	v_dual_add_f32 v56, v56, v4 :: v_dual_add_f32 v61, v66, v61
	v_dual_add_f32 v66, v76, v102 :: v_dual_add_f32 v7, v19, v7
	v_sub_f32_e32 v28, v130, v38
	s_delay_alu instid0(VALU_DEP_3) | instskip(SKIP_4) | instid1(VALU_DEP_4)
	v_add_f32_e32 v56, v60, v56
	v_sub_f32_e32 v60, v192, v65
	v_add_f32_e32 v65, v74, v69
	v_sub_f32_e32 v69, v179, v95
	v_add_f32_e32 v61, v66, v61
	v_dual_add_f32 v7, v13, v7 :: v_dual_add_f32 v56, v60, v56
	s_delay_alu instid0(VALU_DEP_3) | instskip(SKIP_2) | instid1(VALU_DEP_3)
	v_dual_sub_f32 v60, v202, v70 :: v_dual_add_f32 v65, v69, v65
	v_dual_add_f32 v101, v104, v101 :: v_dual_add_f32 v104, v119, v164
	v_sub_f32_e32 v13, v175, v72
	v_add_f32_e32 v56, v60, v56
	v_sub_f32_e32 v60, v210, v75
	v_add_f32_e32 v4, v28, v4
	v_dual_sub_f32 v28, v180, v54 :: v_dual_add_f32 v7, v15, v7
	v_sub_f32_e32 v69, v188, v107
	s_delay_alu instid0(VALU_DEP_4) | instskip(SKIP_1) | instid1(VALU_DEP_4)
	v_add_f32_e32 v56, v60, v56
	v_add_f32_e32 v60, v100, v162
	v_dual_add_f32 v4, v28, v4 :: v_dual_add_f32 v7, v9, v7
	s_delay_alu instid0(VALU_DEP_3) | instskip(SKIP_2) | instid1(VALU_DEP_3)
	v_dual_add_f32 v9, v91, v159 :: v_dual_add_f32 v20, v20, v56
	v_add_f32_e32 v56, v69, v65
	v_add_f32_e32 v57, v104, v101
	v_dual_add_f32 v11, v11, v7 :: v_dual_add_f32 v20, v22, v20
	v_add_f32_e32 v22, v30, v23
	v_add_f32_e32 v66, v83, v167
	v_sub_f32_e32 v23, v143, v96
	s_delay_alu instid0(VALU_DEP_2) | instskip(SKIP_1) | instid1(VALU_DEP_1)
	v_add_f32_e32 v61, v66, v61
	v_add_f32_e32 v66, v86, v166
	;; [unrolled: 1-line block ×3, first 2 shown]
	s_delay_alu instid0(VALU_DEP_1) | instskip(NEXT) | instid1(VALU_DEP_1)
	v_dual_add_f32 v6, v60, v21 :: v_dual_add_f32 v21, v39, v138
	v_add_f32_e32 v5, v21, v5
	v_dual_add_f32 v21, v32, v22 :: v_dual_add_f32 v22, v55, v181
	s_delay_alu instid0(VALU_DEP_1) | instskip(NEXT) | instid1(VALU_DEP_1)
	v_add_f32_e32 v21, v34, v21
	v_dual_add_f32 v21, v24, v21 :: v_dual_sub_f32 v24, v190, v58
	s_delay_alu instid0(VALU_DEP_1) | instskip(SKIP_1) | instid1(VALU_DEP_2)
	v_dual_add_f32 v21, v26, v21 :: v_dual_add_f32 v4, v24, v4
	v_sub_f32_e32 v24, v200, v62
	v_add_f32_e32 v16, v16, v21
	v_sub_f32_e32 v21, v172, v67
	s_delay_alu instid0(VALU_DEP_3) | instskip(NEXT) | instid1(VALU_DEP_3)
	v_add_f32_e32 v4, v24, v4
	v_add_f32_e32 v16, v18, v16
	s_delay_alu instid0(VALU_DEP_2) | instskip(NEXT) | instid1(VALU_DEP_2)
	v_add_f32_e32 v4, v21, v4
	v_add_f32_e32 v12, v12, v16
	s_delay_alu instid0(VALU_DEP_2) | instskip(SKIP_1) | instid1(VALU_DEP_3)
	v_dual_add_f32 v4, v13, v4 :: v_dual_sub_f32 v13, v170, v78
	v_add_f32_e32 v5, v22, v5
	v_add_f32_e32 v12, v14, v12
	v_and_b32_e32 v14, 0xffff, v99
	s_delay_alu instid0(VALU_DEP_4) | instskip(NEXT) | instid1(VALU_DEP_3)
	v_add_f32_e32 v4, v13, v4
	v_add_f32_e32 v8, v8, v12
	v_sub_f32_e32 v12, v199, v87
	s_delay_alu instid0(VALU_DEP_2) | instskip(NEXT) | instid1(VALU_DEP_2)
	v_dual_add_f32 v16, v79, v178 :: v_dual_add_f32 v13, v10, v8
	v_dual_add_f32 v7, v12, v4 :: v_dual_add_f32 v22, v59, v191
	v_add_f32_e32 v10, v37, v11
	s_delay_alu instid0(VALU_DEP_2) | instskip(SKIP_1) | instid1(VALU_DEP_1)
	v_dual_add_f32 v5, v22, v5 :: v_dual_lshlrev_b32 v4, 3, v14
	v_dual_add_f32 v22, v63, v201 :: v_dual_add_f32 v63, v106, v82
	v_add_f32_e32 v5, v22, v5
	s_delay_alu instid0(VALU_DEP_1) | instskip(SKIP_1) | instid1(VALU_DEP_1)
	v_add_f32_e32 v5, v17, v5
	v_add_f32_e32 v17, v73, v214
	;; [unrolled: 1-line block ×3, first 2 shown]
	s_delay_alu instid0(VALU_DEP_1) | instskip(NEXT) | instid1(VALU_DEP_1)
	v_add_f32_e32 v5, v16, v5
	v_add_f32_e32 v8, v9, v5
	;; [unrolled: 1-line block ×4, first 2 shown]
	ds_store_2addr_b64 v4, v[9:10], v[7:8] offset1:1
	ds_store_2addr_b64 v4, v[5:6], v[56:57] offset0:2 offset1:3
	ds_store_2addr_b64 v4, v[63:64], v[92:93] offset0:4 offset1:5
	;; [unrolled: 1-line block ×7, first 2 shown]
	ds_store_b64 v4, v[89:90] offset:128
.LBB0_7:
	s_wait_alu 0xfffe
	s_or_b32 exec_lo, exec_lo, s0
	v_add_nc_u32_e32 v4, 0xa00, v97
	v_add_nc_u32_e32 v5, 0x1600, v97
	global_wb scope:SCOPE_SE
	s_wait_dscnt 0x0
	s_barrier_signal -1
	s_barrier_wait -1
	global_inv scope:SCOPE_SE
	ds_load_2addr_b64 v[28:31], v97 offset1:187
	ds_load_2addr_b64 v[36:39], v4 offset0:54 offset1:241
	ds_load_2addr_b64 v[32:35], v5 offset0:44 offset1:231
	ds_load_b64 v[54:55], v97 offset:8976
	v_cmp_gt_u16_e64 s0, 0x44, v98
	s_delay_alu instid0(VALU_DEP_1)
	s_and_saveexec_b32 s1, s0
	s_cbranch_execz .LBB0_9
; %bb.8:
	v_add_nc_u32_e32 v4, 0xe00, v97
	v_add_nc_u32_e32 v8, 0x1a00, v97
	ds_load_2addr_b64 v[4:7], v4 offset0:45 offset1:232
	ds_load_2addr_b64 v[8:11], v8 offset0:35 offset1:222
	v_add_nc_u32_e32 v12, 0x200, v97
	s_wait_dscnt 0x1
	v_dual_mov_b32 v48, v6 :: v_dual_mov_b32 v51, v5
	s_wait_dscnt 0x0
	v_mov_b32_e32 v47, v9
	ds_load_2addr_b64 v[12:15], v12 offset0:55 offset1:242
	ds_load_b64 v[40:41], v97 offset:9928
	v_dual_mov_b32 v49, v7 :: v_dual_mov_b32 v42, v10
	v_dual_mov_b32 v43, v11 :: v_dual_mov_b32 v46, v8
	s_wait_dscnt 0x1
	v_dual_mov_b32 v50, v4 :: v_dual_mov_b32 v45, v13
	v_dual_mov_b32 v52, v14 :: v_dual_mov_b32 v53, v15
	v_mov_b32_e32 v44, v12
.LBB0_9:
	s_wait_alu 0xfffe
	s_or_b32 exec_lo, exec_lo, s1
	v_and_b32_e32 v4, 0xff, v98
	v_add_nc_u16 v5, v98, 0x77
	s_delay_alu instid0(VALU_DEP_2) | instskip(NEXT) | instid1(VALU_DEP_2)
	v_mul_lo_u16 v4, 0xf1, v4
	v_and_b32_e32 v6, 0xff, v5
	s_delay_alu instid0(VALU_DEP_2) | instskip(NEXT) | instid1(VALU_DEP_1)
	v_lshrrev_b16 v56, 12, v4
	v_mul_lo_u16 v4, v56, 17
	s_delay_alu instid0(VALU_DEP_1) | instskip(NEXT) | instid1(VALU_DEP_1)
	v_sub_nc_u16 v4, v98, v4
	v_and_b32_e32 v57, 0xff, v4
	v_mul_lo_u16 v4, 0xf1, v6
	s_delay_alu instid0(VALU_DEP_2) | instskip(NEXT) | instid1(VALU_DEP_2)
	v_mul_u32_u24_e32 v6, 6, v57
	v_lshrrev_b16 v62, 12, v4
	s_delay_alu instid0(VALU_DEP_2) | instskip(NEXT) | instid1(VALU_DEP_2)
	v_lshlrev_b32_e32 v4, 3, v6
	v_mul_lo_u16 v6, v62, 17
	s_clause 0x1
	global_load_b128 v[24:27], v4, s[2:3]
	global_load_b128 v[20:23], v4, s[2:3] offset:16
	v_sub_nc_u16 v5, v5, v6
	v_and_b32_e32 v102, 0xffff, v62
	s_wait_loadcnt_dscnt 0x102
	s_delay_alu instid0(VALU_DEP_2)
	v_dual_mul_f32 v59, v36, v27 :: v_dual_and_b32 v100, 0xff, v5
	s_wait_loadcnt_dscnt 0x1
	v_mul_f32_e32 v63, v33, v23
	v_mul_f32_e32 v61, v38, v21
	global_load_b128 v[16:19], v4, s[2:3] offset:32
	v_mul_u32_u24_e32 v4, 6, v100
	v_and_b32_e32 v56, 0xffff, v56
	v_dual_mul_f32 v60, v39, v21 :: v_dual_fmac_f32 v59, v37, v26
	v_dual_mul_f32 v64, v32, v23 :: v_dual_fmac_f32 v61, v39, v20
	s_delay_alu instid0(VALU_DEP_4)
	v_lshlrev_b32_e32 v12, 3, v4
	v_fma_f32 v32, v32, v22, -v63
	s_wait_loadcnt 0x0
	v_mul_f32_e32 v65, v35, v17
	s_clause 0x2
	global_load_b128 v[8:11], v12, s[2:3]
	global_load_b128 v[4:7], v12, s[2:3] offset:16
	global_load_b128 v[12:15], v12, s[2:3] offset:32
	s_wait_dscnt 0x0
	v_mul_f32_e32 v67, v55, v19
	v_mul_u32_u24_e32 v56, 0x77, v56
	v_mul_f32_e32 v66, v34, v17
	v_mul_f32_e32 v68, v54, v19
	v_fmac_f32_e32 v64, v33, v22
	v_fma_f32 v33, v34, v16, -v65
	v_add_lshl_u32 v101, v56, v57, 3
	v_dual_mul_f32 v57, v30, v25 :: v_dual_mul_f32 v58, v37, v27
	v_mul_f32_e32 v56, v31, v25
	v_fma_f32 v34, v54, v18, -v67
	s_load_b128 s[4:7], s[4:5], 0x0
	s_delay_alu instid0(VALU_DEP_3)
	v_fmac_f32_e32 v57, v31, v24
	v_fma_f32 v31, v36, v26, -v58
	v_fma_f32 v36, v38, v20, -v60
	;; [unrolled: 1-line block ×3, first 2 shown]
	global_wb scope:SCOPE_SE
	s_wait_loadcnt 0x0
	s_wait_kmcnt 0x0
	s_barrier_signal -1
	s_barrier_wait -1
	global_inv scope:SCOPE_SE
	v_mul_f32_e32 v38, v51, v11
	v_mul_f32_e32 v39, v50, v11
	;; [unrolled: 1-line block ×4, first 2 shown]
	v_dual_mul_f32 v65, v41, v15 :: v_dual_fmac_f32 v66, v35, v16
	v_dual_mul_f32 v35, v53, v9 :: v_dual_fmac_f32 v68, v55, v18
	v_mul_f32_e32 v55, v48, v5
	v_mul_f32_e32 v37, v52, v9
	v_dual_mul_f32 v54, v49, v5 :: v_dual_mul_f32 v67, v40, v15
	v_mul_f32_e32 v56, v47, v7
	s_delay_alu instid0(VALU_DEP_4)
	v_dual_mul_f32 v60, v43, v13 :: v_dual_fmac_f32 v55, v49, v4
	v_fmac_f32_e32 v39, v51, v10
	v_fmac_f32_e32 v58, v47, v6
	;; [unrolled: 1-line block ×3, first 2 shown]
	v_add_f32_e32 v43, v57, v68
	v_add_f32_e32 v49, v59, v66
	v_fmac_f32_e32 v37, v53, v8
	v_fma_f32 v38, v50, v10, -v38
	v_fma_f32 v46, v46, v6, -v56
	v_dual_fmac_f32 v67, v41, v14 :: v_dual_add_f32 v50, v36, v32
	v_add_f32_e32 v41, v30, v34
	v_sub_f32_e32 v30, v30, v34
	v_dual_sub_f32 v34, v57, v68 :: v_dual_add_f32 v47, v31, v33
	v_sub_f32_e32 v32, v32, v36
	v_sub_f32_e32 v36, v64, v61
	v_dual_sub_f32 v31, v31, v33 :: v_dual_sub_f32 v56, v49, v43
	v_sub_f32_e32 v33, v59, v66
	v_fma_f32 v35, v52, v8, -v35
	v_fma_f32 v48, v48, v4, -v54
	;; [unrolled: 1-line block ×3, first 2 shown]
	v_sub_f32_e32 v60, v32, v31
	v_fma_f32 v40, v40, v14, -v65
	v_dual_add_f32 v51, v61, v64 :: v_dual_add_f32 v52, v47, v41
	v_dual_add_f32 v53, v49, v43 :: v_dual_sub_f32 v54, v47, v41
	v_add_f32_e32 v57, v32, v31
	v_dual_add_f32 v59, v36, v33 :: v_dual_add_f32 v66, v39, v63
	v_sub_f32_e32 v61, v36, v33
	v_sub_f32_e32 v31, v31, v30
	v_add_f32_e32 v65, v37, v67
	v_dual_sub_f32 v41, v41, v50 :: v_dual_sub_f32 v32, v30, v32
	v_dual_sub_f32 v43, v43, v51 :: v_dual_sub_f32 v36, v34, v36
	v_dual_sub_f32 v47, v50, v47 :: v_dual_add_f32 v64, v35, v40
	v_sub_f32_e32 v49, v51, v49
	v_sub_f32_e32 v33, v33, v34
	v_sub_f32_e32 v35, v35, v40
	v_dual_sub_f32 v37, v37, v67 :: v_dual_add_f32 v34, v59, v34
	v_add_f32_e32 v40, v38, v42
	v_dual_sub_f32 v38, v38, v42 :: v_dual_sub_f32 v39, v39, v63
	v_add_f32_e32 v63, v48, v46
	v_dual_add_f32 v67, v55, v58 :: v_dual_sub_f32 v42, v46, v48
	v_sub_f32_e32 v46, v58, v55
	v_mul_f32_e32 v58, 0x3f5ff5aa, v31
	v_add_f32_e32 v48, v50, v52
	v_add_f32_e32 v50, v51, v53
	v_dual_add_f32 v30, v57, v30 :: v_dual_mul_f32 v57, 0xbf08b237, v61
	v_add_f32_e32 v70, v42, v38
	v_dual_add_f32 v61, v66, v65 :: v_dual_sub_f32 v74, v35, v42
	v_dual_mul_f32 v41, 0x3f4a47b2, v41 :: v_dual_sub_f32 v68, v40, v64
	v_mul_f32_e32 v52, 0x3d64c772, v47
	v_mul_f32_e32 v51, 0x3f4a47b2, v43
	;; [unrolled: 1-line block ×4, first 2 shown]
	v_dual_mul_f32 v59, 0x3f5ff5aa, v33 :: v_dual_sub_f32 v72, v42, v38
	v_dual_add_f32 v60, v40, v64 :: v_dual_sub_f32 v69, v66, v65
	v_dual_sub_f32 v65, v65, v67 :: v_dual_add_f32 v42, v28, v48
	v_sub_f32_e32 v73, v46, v39
	v_fma_f32 v76, 0xbeae86e6, v32, -v58
	v_add_f32_e32 v58, v67, v61
	v_sub_f32_e32 v64, v64, v63
	v_sub_f32_e32 v40, v63, v40
	v_dual_sub_f32 v66, v67, v66 :: v_dual_add_f32 v71, v46, v39
	v_dual_sub_f32 v38, v38, v35 :: v_dual_sub_f32 v39, v39, v37
	v_add_f32_e32 v43, v29, v50
	v_fma_f32 v53, 0x3f3bfb3b, v56, -v53
	v_fmamk_f32 v75, v36, 0x3eae86e6, v57
	v_fma_f32 v36, 0xbeae86e6, v36, -v59
	v_dual_fmamk_f32 v48, v48, 0xbf955555, v42 :: v_dual_add_f32 v29, v45, v58
	v_fmamk_f32 v49, v49, 0x3d64c772, v51
	v_fma_f32 v51, 0xbf3bfb3b, v56, -v51
	v_fma_f32 v56, 0x3f5ff5aa, v33, -v57
	v_add_f32_e32 v57, v63, v60
	v_fmamk_f32 v47, v47, 0x3d64c772, v41
	v_fma_f32 v41, 0xbf3bfb3b, v54, -v41
	v_sub_f32_e32 v46, v37, v46
	v_fma_f32 v52, 0x3f3bfb3b, v54, -v52
	v_fmamk_f32 v54, v32, 0x3eae86e6, v55
	v_fma_f32 v55, 0x3f5ff5aa, v31, -v55
	v_dual_add_f32 v59, v70, v35 :: v_dual_mul_f32 v60, 0xbf08b237, v72
	v_mul_f32_e32 v32, 0x3f4a47b2, v65
	v_dual_add_f32 v37, v71, v37 :: v_dual_fmamk_f32 v50, v50, 0xbf955555, v43
	v_dual_fmac_f32 v56, 0x3ee1c552, v34 :: v_dual_add_f32 v41, v41, v48
	v_fmac_f32_e32 v36, 0x3ee1c552, v34
	v_mul_f32_e32 v35, 0x3d64c772, v66
	v_mul_f32_e32 v31, 0x3f4a47b2, v64
	;; [unrolled: 1-line block ×4, first 2 shown]
	v_fmac_f32_e32 v54, 0x3ee1c552, v30
	v_fmac_f32_e32 v55, 0x3ee1c552, v30
	;; [unrolled: 1-line block ×3, first 2 shown]
	v_fma_f32 v67, 0x3f3bfb3b, v69, -v35
	v_fmamk_f32 v30, v74, 0x3eae86e6, v60
	v_fma_f32 v35, 0x3f5ff5aa, v38, -v60
	v_dual_add_f32 v60, v53, v50 :: v_dual_mul_f32 v33, 0x3d64c772, v40
	v_fmamk_f32 v40, v40, 0x3d64c772, v31
	v_mul_f32_e32 v63, 0x3f5ff5aa, v38
	v_dual_fmac_f32 v75, 0x3ee1c552, v34 :: v_dual_fmac_f32 v30, 0x3ee1c552, v59
	v_add_f32_e32 v28, v44, v57
	v_fma_f32 v69, 0xbf3bfb3b, v69, -v32
	v_dual_add_f32 v38, v47, v48 :: v_dual_fmamk_f32 v65, v66, 0x3d64c772, v32
	v_fma_f32 v66, 0x3f3bfb3b, v68, -v33
	v_fma_f32 v33, 0x3f5ff5aa, v39, -v61
	;; [unrolled: 1-line block ×3, first 2 shown]
	s_delay_alu instid0(VALU_DEP_4)
	v_add_f32_e32 v44, v75, v38
	v_add_f32_e32 v39, v49, v50
	;; [unrolled: 1-line block ×3, first 2 shown]
	v_fma_f32 v68, 0xbf3bfb3b, v68, -v31
	v_fmac_f32_e32 v32, 0x3ee1c552, v37
	v_dual_add_f32 v48, v51, v50 :: v_dual_fmamk_f32 v31, v46, 0x3eae86e6, v61
	v_dual_fmamk_f32 v50, v57, 0xbf955555, v28 :: v_dual_fmamk_f32 v51, v58, 0xbf955555, v29
	v_sub_f32_e32 v52, v49, v56
	v_fma_f32 v34, 0xbeae86e6, v74, -v63
	v_fmac_f32_e32 v35, 0x3ee1c552, v59
	v_dual_fmac_f32 v33, 0x3ee1c552, v37 :: v_dual_sub_f32 v58, v41, v36
	s_delay_alu instid0(VALU_DEP_3)
	v_dual_sub_f32 v45, v39, v54 :: v_dual_fmac_f32 v34, 0x3ee1c552, v59
	v_dual_add_f32 v46, v36, v41 :: v_dual_add_f32 v53, v55, v60
	v_add_f32_e32 v36, v40, v50
	v_add_f32_e32 v56, v56, v49
	v_fmac_f32_e32 v31, 0x3ee1c552, v37
	v_sub_f32_e32 v47, v48, v76
	v_sub_f32_e32 v57, v60, v55
	v_dual_add_f32 v59, v76, v48 :: v_dual_add_f32 v40, v69, v51
	v_sub_f32_e32 v60, v38, v75
	v_dual_add_f32 v38, v66, v50 :: v_dual_add_f32 v41, v67, v51
	v_add_f32_e32 v37, v68, v50
	v_add_f32_e32 v61, v54, v39
	;; [unrolled: 1-line block ×3, first 2 shown]
	s_delay_alu instid0(VALU_DEP_4)
	v_add_f32_e32 v54, v33, v38
	v_sub_f32_e32 v55, v41, v35
	v_sub_f32_e32 v48, v37, v32
	v_dual_add_f32 v49, v34, v40 :: v_dual_sub_f32 v50, v36, v31
	v_add_f32_e32 v51, v30, v39
	ds_store_2addr_b64 v101, v[42:43], v[44:45] offset1:17
	ds_store_2addr_b64 v101, v[46:47], v[52:53] offset0:34 offset1:51
	ds_store_2addr_b64 v101, v[56:57], v[58:59] offset0:68 offset1:85
	ds_store_b64 v101, v[60:61] offset:816
	s_and_saveexec_b32 s1, s0
	s_cbranch_execz .LBB0_11
; %bb.10:
	v_mul_u32_u24_e32 v43, 0x77, v102
	v_add_f32_e32 v42, v35, v41
	v_sub_f32_e32 v41, v38, v33
	v_dual_sub_f32 v33, v40, v34 :: v_dual_add_f32 v34, v31, v36
	v_dual_sub_f32 v35, v39, v30 :: v_dual_add_f32 v32, v32, v37
	v_add_lshl_u32 v30, v43, v100, 3
	ds_store_2addr_b64 v30, v[28:29], v[34:35] offset1:17
	ds_store_2addr_b64 v30, v[32:33], v[41:42] offset0:34 offset1:51
	ds_store_2addr_b64 v30, v[54:55], v[48:49] offset0:68 offset1:85
	ds_store_b64 v30, v[50:51] offset:816
.LBB0_11:
	s_wait_alu 0xfffe
	s_or_b32 exec_lo, exec_lo, s1
	v_mad_co_u64_u32 v[36:37], null, 0x50, v98, s[2:3]
	global_wb scope:SCOPE_SE
	s_wait_dscnt 0x0
	s_barrier_signal -1
	s_barrier_wait -1
	global_inv scope:SCOPE_SE
	s_clause 0x4
	global_load_b128 v[44:47], v[36:37], off offset:816
	global_load_b128 v[40:43], v[36:37], off offset:832
	;; [unrolled: 1-line block ×5, first 2 shown]
	ds_load_2addr_b64 v[56:59], v97 offset0:119 offset1:238
	v_add_nc_u32_e32 v77, 0x800, v97
	s_wait_loadcnt_dscnt 0x400
	v_dual_mul_f32 v87, v58, v47 :: v_dual_add_nc_u32 v78, 0x1000, v97
	v_mul_f32_e32 v86, v59, v47
	ds_load_2addr_b64 v[60:63], v77 offset0:101 offset1:220
	v_add_nc_u32_e32 v79, 0x1800, v97
	v_add_nc_u32_e32 v76, 0x2000, v97
	ds_load_2addr_b64 v[64:67], v78 offset0:83 offset1:202
	v_add_nc_u32_e32 v80, 0x400, v97
	v_add_nc_u32_e32 v83, 0xc00, v97
	v_fmac_f32_e32 v87, v59, v46
	s_wait_loadcnt_dscnt 0x301
	v_mul_f32_e32 v93, v63, v43
	v_mul_f32_e32 v94, v62, v43
	ds_load_2addr_b64 v[68:71], v79 offset0:65 offset1:184
	ds_load_b64 v[52:53], v97
	s_wait_loadcnt_dscnt 0x202
	v_mul_f32_e32 v104, v66, v35
	ds_load_2addr_b64 v[72:75], v76 offset0:47 offset1:166
	v_add_nc_u32_e32 v81, 0x1400, v97
	v_add_nc_u32_e32 v82, 0x1c00, v97
	v_mul_f32_e32 v84, v57, v45
	v_mul_f32_e32 v85, v56, v45
	v_dual_mul_f32 v91, v61, v41 :: v_dual_fmac_f32 v94, v63, v42
	v_dual_mul_f32 v95, v65, v33 :: v_dual_fmac_f32 v104, v67, v34
	v_dual_mul_f32 v96, v64, v33 :: v_dual_mul_f32 v103, v67, v35
	v_fma_f32 v59, v62, v42, -v93
	s_wait_loadcnt_dscnt 0x102
	v_mul_f32_e32 v107, v71, v31
	v_dual_mul_f32 v108, v70, v31 :: v_dual_mul_f32 v105, v69, v29
	s_wait_loadcnt_dscnt 0x0
	v_mul_f32_e32 v111, v75, v39
	v_mul_f32_e32 v112, v74, v39
	v_dual_mul_f32 v92, v60, v41 :: v_dual_fmac_f32 v85, v57, v44
	v_mul_f32_e32 v109, v73, v37
	v_fma_f32 v56, v56, v44, -v84
	s_delay_alu instid0(VALU_DEP_4)
	v_fmac_f32_e32 v112, v75, v38
	v_mul_f32_e32 v106, v68, v29
	v_fma_f32 v57, v58, v46, -v86
	v_fma_f32 v58, v60, v40, -v91
	;; [unrolled: 1-line block ×3, first 2 shown]
	v_dual_add_f32 v67, v85, v112 :: v_dual_mul_f32 v110, v72, v37
	v_fmac_f32_e32 v108, v71, v30
	v_fma_f32 v62, v68, v28, -v105
	s_delay_alu instid0(VALU_DEP_4)
	v_add_f32_e32 v75, v58, v63
	v_fma_f32 v70, v74, v38, -v111
	v_fmac_f32_e32 v92, v61, v40
	v_fma_f32 v60, v64, v32, -v95
	v_dual_fmac_f32 v96, v65, v32 :: v_dual_add_f32 v91, v59, v62
	v_fma_f32 v61, v66, v34, -v103
	v_dual_fmac_f32 v106, v69, v28 :: v_dual_sub_f32 v95, v59, v62
	v_fma_f32 v69, v72, v36, -v109
	v_fmac_f32_e32 v110, v73, v36
	v_dual_add_f32 v64, v52, v56 :: v_dual_add_f32 v65, v53, v85
	s_delay_alu instid0(VALU_DEP_3)
	v_dual_add_f32 v66, v56, v70 :: v_dual_add_f32 v71, v57, v69
	v_dual_sub_f32 v56, v56, v70 :: v_dual_sub_f32 v73, v57, v69
	v_dual_sub_f32 v68, v85, v112 :: v_dual_sub_f32 v103, v94, v106
	v_sub_f32_e32 v85, v58, v63
	v_add_f32_e32 v93, v94, v106
	v_dual_add_f32 v72, v87, v110 :: v_dual_add_f32 v105, v60, v61
	v_dual_sub_f32 v74, v87, v110 :: v_dual_add_f32 v107, v96, v104
	v_sub_f32_e32 v86, v92, v108
	v_sub_f32_e32 v109, v60, v61
	v_dual_add_f32 v57, v64, v57 :: v_dual_mul_f32 v114, 0xbf68dda4, v56
	v_dual_add_f32 v64, v65, v87 :: v_dual_mul_f32 v65, 0xbf0a6770, v68
	v_dual_mul_f32 v134, 0xbf0a6770, v85 :: v_dual_mul_f32 v87, 0xbf0a6770, v56
	v_mul_f32_e32 v140, 0xbf0a6770, v95
	v_dual_add_f32 v84, v92, v108 :: v_dual_mul_f32 v119, 0xbf68dda4, v74
	v_dual_sub_f32 v111, v96, v104 :: v_dual_mul_f32 v120, 0xbf68dda4, v73
	v_dual_mul_f32 v115, 0xbf7d64f0, v68 :: v_dual_mul_f32 v128, 0xbf7d64f0, v85
	v_dual_mul_f32 v117, 0xbf4178ce, v68 :: v_dual_mul_f32 v122, 0xbf4178ce, v73
	;; [unrolled: 1-line block ×8, first 2 shown]
	v_mul_f32_e32 v133, 0xbf0a6770, v86
	v_dual_mul_f32 v136, 0xbf4178ce, v95 :: v_dual_add_f32 v57, v57, v58
	v_add_f32_e32 v58, v64, v92
	v_mul_f32_e32 v113, 0xbf68dda4, v68
	v_dual_mul_f32 v68, 0xbe903f40, v68 :: v_dual_mul_f32 v141, 0xbe903f40, v103
	v_fma_f32 v64, 0x3f575c64, v66, -v65
	v_fmamk_f32 v92, v67, 0x3f575c64, v87
	v_fma_f32 v87, 0x3f575c64, v67, -v87
	v_dual_mul_f32 v129, 0x3e903f40, v86 :: v_dual_mul_f32 v130, 0x3e903f40, v85
	v_dual_mul_f32 v131, 0x3f68dda4, v86 :: v_dual_mul_f32 v132, 0x3f68dda4, v85
	;; [unrolled: 1-line block ×3, first 2 shown]
	v_mul_f32_e32 v85, 0xbf4178ce, v85
	v_mul_f32_e32 v138, 0x3f7d64f0, v95
	v_dual_mul_f32 v144, 0xbe903f40, v109 :: v_dual_add_f32 v57, v57, v59
	v_dual_mul_f32 v145, 0x3f0a6770, v111 :: v_dual_mul_f32 v146, 0x3f0a6770, v109
	v_dual_mul_f32 v147, 0xbf4178ce, v111 :: v_dual_mul_f32 v148, 0xbf4178ce, v109
	v_mul_f32_e32 v150, 0x3f68dda4, v109
	v_fmac_f32_e32 v65, 0x3f575c64, v66
	v_fma_f32 v153, 0xbe11bafb, v66, -v115
	v_dual_fmamk_f32 v154, v67, 0xbe11bafb, v116 :: v_dual_fmac_f32 v115, 0xbe11bafb, v66
	v_fma_f32 v116, 0xbe11bafb, v67, -v116
	v_mul_f32_e32 v149, 0x3f68dda4, v111
	v_fma_f32 v155, 0xbf27a4f4, v66, -v117
	v_dual_fmamk_f32 v156, v67, 0xbf27a4f4, v118 :: v_dual_fmac_f32 v117, 0xbf27a4f4, v66
	v_mul_f32_e32 v111, 0xbf7d64f0, v111
	v_fma_f32 v118, 0xbf27a4f4, v67, -v118
	v_fma_f32 v157, 0xbf75a155, v66, -v68
	v_fmamk_f32 v158, v67, 0xbf75a155, v56
	v_fmac_f32_e32 v68, 0xbf75a155, v66
	v_fma_f32 v56, 0xbf75a155, v67, -v56
	v_fma_f32 v165, 0x3f575c64, v71, -v74
	v_fmac_f32_e32 v74, 0x3f575c64, v71
	v_dual_mul_f32 v142, 0xbe903f40, v95 :: v_dual_add_f32 v65, v52, v65
	v_dual_mul_f32 v95, 0x3f68dda4, v95 :: v_dual_add_f32 v58, v58, v94
	v_fma_f32 v151, 0x3ed4b147, v66, -v113
	v_mul_f32_e32 v109, 0xbf7d64f0, v109
	v_dual_fmamk_f32 v152, v67, 0x3ed4b147, v114 :: v_dual_fmac_f32 v113, 0x3ed4b147, v66
	v_mul_f32_e32 v139, 0xbf0a6770, v103
	v_fma_f32 v114, 0x3ed4b147, v67, -v114
	v_fma_f32 v66, 0x3ed4b147, v71, -v119
	s_delay_alu instid0(VALU_DEP_4)
	v_add_f32_e32 v94, v53, v152
	v_add_f32_e32 v59, v52, v64
	;; [unrolled: 1-line block ×3, first 2 shown]
	v_dual_mul_f32 v137, 0x3f7d64f0, v103 :: v_dual_add_f32 v64, v53, v92
	v_mul_f32_e32 v103, 0x3f68dda4, v103
	v_dual_fmamk_f32 v67, v72, 0x3ed4b147, v120 :: v_dual_fmamk_f32 v182, v93, 0x3ed4b147, v95
	v_dual_fmac_f32 v119, 0x3ed4b147, v71 :: v_dual_fmamk_f32 v170, v84, 0x3ed4b147, v132
	v_fma_f32 v120, 0x3ed4b147, v72, -v120
	v_fma_f32 v159, 0xbf27a4f4, v71, -v121
	v_dual_fmamk_f32 v160, v72, 0xbf27a4f4, v122 :: v_dual_fmac_f32 v121, 0xbf27a4f4, v71
	v_fma_f32 v122, 0xbf27a4f4, v72, -v122
	v_fma_f32 v161, 0xbf75a155, v71, -v123
	v_dual_fmamk_f32 v162, v72, 0xbf75a155, v124 :: v_dual_fmac_f32 v123, 0xbf75a155, v71
	;; [unrolled: 3-line block ×3, first 2 shown]
	v_fma_f32 v126, 0xbe11bafb, v72, -v126
	v_fmamk_f32 v166, v72, 0x3f575c64, v73
	v_fma_f32 v71, 0x3f575c64, v72, -v73
	v_fma_f32 v72, 0xbe11bafb, v75, -v127
	v_dual_fmac_f32 v127, 0xbe11bafb, v75 :: v_dual_fmamk_f32 v176, v93, 0xbe11bafb, v138
	v_fma_f32 v167, 0xbf75a155, v75, -v129
	v_dual_fmamk_f32 v168, v84, 0xbf75a155, v130 :: v_dual_fmac_f32 v129, 0xbf75a155, v75
	v_fma_f32 v130, 0xbf75a155, v84, -v130
	v_fma_f32 v169, 0x3ed4b147, v75, -v131
	v_dual_fmac_f32 v131, 0x3ed4b147, v75 :: v_dual_fmamk_f32 v188, v107, 0x3ed4b147, v150
	v_fma_f32 v132, 0x3ed4b147, v84, -v132
	v_fma_f32 v171, 0x3f575c64, v75, -v133
	v_dual_fmamk_f32 v172, v84, 0x3f575c64, v134 :: v_dual_fmac_f32 v133, 0x3f575c64, v75
	v_fma_f32 v134, 0x3f575c64, v84, -v134
	v_fma_f32 v173, 0xbf27a4f4, v75, -v86
	v_fmamk_f32 v174, v84, 0xbf27a4f4, v85
	v_fmac_f32_e32 v86, 0xbf27a4f4, v75
	v_fma_f32 v75, 0xbf27a4f4, v84, -v85
	v_fmamk_f32 v85, v93, 0xbf27a4f4, v136
	v_fma_f32 v136, 0xbf27a4f4, v93, -v136
	v_fma_f32 v175, 0xbe11bafb, v91, -v137
	v_dual_fmac_f32 v137, 0xbe11bafb, v91 :: v_dual_add_f32 v118, v53, v118
	v_fma_f32 v138, 0xbe11bafb, v93, -v138
	v_fma_f32 v177, 0x3f575c64, v91, -v139
	v_dual_fmamk_f32 v178, v93, 0x3f575c64, v140 :: v_dual_fmac_f32 v139, 0x3f575c64, v91
	v_fma_f32 v140, 0x3f575c64, v93, -v140
	v_fma_f32 v179, 0xbf75a155, v91, -v141
	v_dual_fmamk_f32 v180, v93, 0xbf75a155, v142 :: v_dual_fmac_f32 v141, 0xbf75a155, v91
	v_fma_f32 v142, 0xbf75a155, v93, -v142
	v_fma_f32 v181, 0x3ed4b147, v91, -v103
	v_fmac_f32_e32 v103, 0x3ed4b147, v91
	v_fma_f32 v183, 0x3f575c64, v105, -v145
	v_dual_fmamk_f32 v184, v107, 0x3f575c64, v146 :: v_dual_fmac_f32 v145, 0x3f575c64, v105
	v_fma_f32 v146, 0x3f575c64, v107, -v146
	v_fma_f32 v185, 0xbf27a4f4, v105, -v147
	v_dual_fmamk_f32 v186, v107, 0xbf27a4f4, v148 :: v_dual_fmac_f32 v147, 0xbf27a4f4, v105
	v_fma_f32 v148, 0xbf27a4f4, v107, -v148
	v_fma_f32 v150, 0x3ed4b147, v107, -v150
	v_add_f32_e32 v92, v52, v151
	v_dual_fmamk_f32 v73, v84, 0xbe11bafb, v128 :: v_dual_fmamk_f32 v190, v107, 0xbe11bafb, v109
	v_fma_f32 v128, 0xbe11bafb, v84, -v128
	v_fma_f32 v84, 0xbf27a4f4, v91, -v135
	v_fmac_f32_e32 v135, 0xbf27a4f4, v91
	v_fma_f32 v91, 0x3ed4b147, v93, -v95
	v_fma_f32 v93, 0xbf75a155, v105, -v143
	v_fmamk_f32 v95, v107, 0xbf75a155, v144
	v_fmac_f32_e32 v143, 0xbf75a155, v105
	v_fma_f32 v144, 0xbf75a155, v107, -v144
	v_dual_add_f32 v115, v52, v115 :: v_dual_add_f32 v116, v53, v116
	v_fma_f32 v187, 0x3ed4b147, v105, -v149
	v_dual_fmac_f32 v149, 0x3ed4b147, v105 :: v_dual_add_f32 v152, v53, v156
	v_fma_f32 v189, 0xbe11bafb, v105, -v111
	v_fmac_f32_e32 v111, 0xbe11bafb, v105
	v_fma_f32 v105, 0xbe11bafb, v107, -v109
	v_add_f32_e32 v107, v52, v113
	v_add_f32_e32 v109, v53, v114
	v_dual_add_f32 v114, v53, v154 :: v_dual_add_f32 v113, v52, v153
	v_dual_add_f32 v151, v52, v155 :: v_dual_add_f32 v154, v53, v158
	v_add_f32_e32 v53, v53, v56
	v_add_f32_e32 v56, v57, v60
	;; [unrolled: 1-line block ×8, first 2 shown]
	v_dual_add_f32 v117, v52, v117 :: v_dual_add_f32 v94, v123, v115
	v_add_f32_e32 v52, v52, v68
	v_dual_add_f32 v64, v120, v87 :: v_dual_add_f32 v65, v159, v92
	v_dual_add_f32 v56, v56, v61 :: v_dual_add_f32 v67, v121, v107
	v_add_f32_e32 v96, v124, v116
	v_add_f32_e32 v68, v122, v109
	v_dual_add_f32 v92, v162, v114 :: v_dual_add_f32 v87, v161, v113
	v_dual_add_f32 v52, v74, v52 :: v_dual_add_f32 v107, v163, v151
	v_add_f32_e32 v58, v72, v58
	v_dual_add_f32 v109, v164, v152 :: v_dual_add_f32 v116, v166, v154
	s_delay_alu instid0(VALU_DEP_3)
	v_dual_add_f32 v57, v57, v104 :: v_dual_add_f32 v74, v171, v107
	v_dual_add_f32 v113, v125, v117 :: v_dual_add_f32 v60, v127, v60
	;; [unrolled: 1-line block ×3, first 2 shown]
	v_add_f32_e32 v72, v131, v94
	v_add_f32_e32 v53, v71, v53
	v_dual_add_f32 v61, v128, v64 :: v_dual_add_f32 v64, v167, v65
	v_dual_add_f32 v65, v168, v66 :: v_dual_add_f32 v66, v129, v67
	;; [unrolled: 1-line block ×8, first 2 shown]
	v_add_f32_e32 v92, v133, v113
	v_add_f32_e32 v96, v173, v115
	v_dual_add_f32 v52, v86, v52 :: v_dual_add_f32 v53, v75, v53
	v_dual_add_f32 v61, v136, v61 :: v_dual_add_f32 v62, v175, v64
	s_delay_alu instid0(VALU_DEP_3)
	v_dual_add_f32 v75, v180, v87 :: v_dual_add_f32 v86, v181, v96
	v_dual_add_f32 v87, v182, v104 :: v_dual_add_f32 v56, v56, v63
	;; [unrolled: 1-line block ×4, first 2 shown]
	v_add_f32_e32 v65, v137, v66
	v_dual_add_f32 v67, v138, v67 :: v_dual_add_f32 v68, v177, v68
	v_dual_add_f32 v71, v178, v71 :: v_dual_add_f32 v72, v139, v72
	;; [unrolled: 1-line block ×6, first 2 shown]
	v_add_f32_e32 v60, v183, v62
	v_dual_add_f32 v56, v56, v69 :: v_dual_add_f32 v57, v57, v110
	v_dual_add_f32 v59, v95, v59 :: v_dual_add_f32 v66, v145, v65
	v_add_f32_e32 v61, v184, v64
	v_dual_add_f32 v67, v146, v67 :: v_dual_add_f32 v62, v185, v68
	v_dual_add_f32 v63, v186, v71 :: v_dual_add_f32 v64, v147, v72
	v_dual_add_f32 v65, v148, v73 :: v_dual_add_f32 v68, v187, v74
	v_dual_add_f32 v74, v149, v84 :: v_dual_add_f32 v69, v188, v75
	v_dual_add_f32 v75, v150, v85 :: v_dual_add_f32 v56, v56, v70
	v_add_f32_e32 v57, v57, v112
	v_dual_add_f32 v70, v189, v86 :: v_dual_add_f32 v71, v190, v87
	v_dual_add_f32 v72, v111, v92 :: v_dual_add_f32 v73, v105, v91
	ds_store_b64 v97, v[56:57]
	ds_store_b64 v97, v[58:59] offset:952
	ds_store_2addr_b64 v80, v[60:61], v[62:63] offset0:110 offset1:229
	ds_store_2addr_b64 v83, v[68:69], v[70:71] offset0:92 offset1:211
	;; [unrolled: 1-line block ×4, first 2 shown]
	ds_store_b64 v97, v[52:53] offset:9520
	global_wb scope:SCOPE_SE
	s_wait_dscnt 0x0
	s_barrier_signal -1
	s_barrier_wait -1
	global_inv scope:SCOPE_SE
	s_and_saveexec_b32 s1, vcc_lo
	s_cbranch_execz .LBB0_13
; %bb.12:
	global_load_b64 v[83:84], v97, s[8:9] offset:10472
	s_add_nc_u64 s[2:3], s[8:9], 0x28e8
	s_clause 0xf
	global_load_b64 v[95:96], v97, s[2:3] offset:616
	global_load_b64 v[127:128], v97, s[2:3] offset:1232
	;; [unrolled: 1-line block ×16, first 2 shown]
	ds_load_b64 v[85:86], v97
	s_wait_loadcnt_dscnt 0x1000
	v_mul_f32_e32 v87, v86, v84
	v_mul_f32_e32 v92, v85, v84
	s_delay_alu instid0(VALU_DEP_2) | instskip(NEXT) | instid1(VALU_DEP_2)
	v_fma_f32 v91, v85, v83, -v87
	v_fmac_f32_e32 v92, v86, v83
	ds_store_b64 v97, v[91:92]
	ds_load_2addr_b64 v[83:86], v97 offset0:77 offset1:154
	ds_load_2addr_b64 v[91:94], v80 offset0:103 offset1:180
	ds_load_2addr_b64 v[103:106], v77 offset0:129 offset1:206
	ds_load_2addr_b64 v[107:110], v78 offset0:27 offset1:104
	ds_load_2addr_b64 v[111:114], v81 offset0:53 offset1:130
	ds_load_2addr_b64 v[115:118], v79 offset0:79 offset1:156
	ds_load_2addr_b64 v[119:122], v82 offset0:105 offset1:182
	ds_load_2addr_b64 v[123:126], v76 offset0:131 offset1:208
	s_wait_loadcnt_dscnt 0xf07
	v_mul_f32_e32 v157, v83, v96
	v_mul_f32_e32 v158, v84, v96
	s_wait_loadcnt_dscnt 0xb05
	v_dual_mul_f32 v159, v86, v128 :: v_dual_mul_f32 v162, v104, v134
	s_delay_alu instid0(VALU_DEP_3)
	v_dual_mul_f32 v96, v85, v128 :: v_dual_fmac_f32 v157, v84, v95
	v_mul_f32_e32 v160, v92, v130
	v_mul_f32_e32 v87, v91, v130
	v_dual_mul_f32 v161, v94, v132 :: v_dual_mul_f32 v130, v103, v134
	v_mul_f32_e32 v128, v93, v132
	s_wait_loadcnt_dscnt 0x904
	v_dual_mul_f32 v163, v106, v136 :: v_dual_mul_f32 v164, v108, v138
	v_mul_f32_e32 v132, v105, v136
	s_wait_loadcnt 0x8
	v_dual_mul_f32 v134, v107, v138 :: v_dual_mul_f32 v165, v110, v140
	v_mul_f32_e32 v136, v109, v140
	s_wait_loadcnt_dscnt 0x603
	v_dual_mul_f32 v166, v112, v142 :: v_dual_mul_f32 v167, v114, v144
	s_wait_loadcnt_dscnt 0x402
	v_dual_mul_f32 v138, v111, v142 :: v_dual_mul_f32 v169, v118, v148
	v_mul_f32_e32 v140, v113, v144
	s_wait_loadcnt_dscnt 0x201
	v_dual_mul_f32 v168, v116, v146 :: v_dual_mul_f32 v171, v122, v152
	v_mul_f32_e32 v142, v115, v146
	v_mul_f32_e32 v144, v117, v148
	;; [unrolled: 1-line block ×5, first 2 shown]
	s_wait_loadcnt_dscnt 0x100
	v_mul_f32_e32 v172, v124, v154
	v_mul_f32_e32 v150, v123, v154
	s_wait_loadcnt 0x0
	v_mul_f32_e32 v154, v126, v156
	v_mul_f32_e32 v152, v125, v156
	v_fma_f32 v156, v83, v95, -v158
	v_fma_f32 v95, v85, v127, -v159
	v_fmac_f32_e32 v96, v86, v127
	v_fma_f32 v86, v91, v129, -v160
	v_fmac_f32_e32 v87, v92, v129
	;; [unrolled: 2-line block ×15, first 2 shown]
	ds_store_2addr_b64 v97, v[156:157], v[95:96] offset0:77 offset1:154
	ds_store_2addr_b64 v80, v[86:87], v[127:128] offset0:103 offset1:180
	;; [unrolled: 1-line block ×8, first 2 shown]
.LBB0_13:
	s_wait_alu 0xfffe
	s_or_b32 exec_lo, exec_lo, s1
	global_wb scope:SCOPE_SE
	s_wait_dscnt 0x0
	s_barrier_signal -1
	s_barrier_wait -1
	global_inv scope:SCOPE_SE
	s_and_saveexec_b32 s1, vcc_lo
	s_cbranch_execz .LBB0_15
; %bb.14:
	v_add_nc_u32_e32 v0, 0x800, v97
	v_add_nc_u32_e32 v1, 0xc00, v97
	;; [unrolled: 1-line block ×4, first 2 shown]
	ds_load_2addr_b64 v[56:59], v97 offset1:77
	ds_load_2addr_b64 v[68:71], v0 offset0:52 offset1:129
	v_add_nc_u32_e32 v0, 0x2000, v97
	ds_load_2addr_b64 v[60:63], v97 offset0:154 offset1:231
	ds_load_2addr_b64 v[72:75], v1 offset0:78 offset1:155
	;; [unrolled: 1-line block ×6, first 2 shown]
	ds_load_b64 v[89:90], v97 offset:9856
.LBB0_15:
	s_wait_alu 0xfffe
	s_or_b32 exec_lo, exec_lo, s1
	s_wait_dscnt 0x0
	v_dual_sub_f32 v110, v59, v90 :: v_dual_add_f32 v115, v90, v59
	v_dual_add_f32 v103, v89, v58 :: v_dual_sub_f32 v104, v58, v89
	v_add_f32_e32 v137, v53, v75
	s_delay_alu instid0(VALU_DEP_3) | instskip(NEXT) | instid1(VALU_DEP_4)
	v_dual_add_f32 v119, v3, v61 :: v_dual_mul_f32 v84, 0xbf59a7d5, v115
	v_mul_f32_e32 v79, 0xbf06c442, v110
	v_mul_f32_e32 v96, 0x3dbcf732, v115
	;; [unrolled: 1-line block ×3, first 2 shown]
	global_wb scope:SCOPE_SE
	v_fmamk_f32 v85, v104, 0x3f06c442, v84
	v_fmac_f32_e32 v84, 0xbf06c442, v104
	s_barrier_signal -1
	v_fma_f32 v76, 0x3dbcf732, v103, -v95
	s_barrier_wait -1
	global_inv scope:SCOPE_SE
	v_add_f32_e32 v84, v57, v84
	v_dual_mul_f32 v138, 0xbf1a4643, v115 :: v_dual_add_f32 v85, v57, v85
	v_add_f32_e32 v105, v2, v60
	v_add_f32_e32 v76, v56, v76
	v_sub_f32_e32 v112, v61, v3
	s_delay_alu instid0(VALU_DEP_4) | instskip(SKIP_3) | instid1(VALU_DEP_4)
	v_fmamk_f32 v82, v104, 0xbf4c4adb, v138
	v_fmamk_f32 v83, v103, 0xbf59a7d5, v79
	v_fma_f32 v79, 0xbf59a7d5, v103, -v79
	v_mul_f32_e32 v86, 0xbe3c28d5, v110
	v_dual_mul_f32 v135, 0x3f06c442, v112 :: v_dual_add_f32 v82, v57, v82
	s_delay_alu instid0(VALU_DEP_4) | instskip(NEXT) | instid1(VALU_DEP_4)
	v_dual_mul_f32 v134, 0xbf4c4adb, v110 :: v_dual_add_f32 v83, v56, v83
	v_add_f32_e32 v79, v56, v79
	s_delay_alu instid0(VALU_DEP_4) | instskip(SKIP_1) | instid1(VALU_DEP_4)
	v_fmamk_f32 v91, v103, 0xbf7ba420, v86
	v_fma_f32 v86, 0xbf7ba420, v103, -v86
	v_fma_f32 v81, 0xbf1a4643, v103, -v134
	v_mul_f32_e32 v94, 0xbe8c1d8e, v115
	v_dual_mul_f32 v87, 0xbf7ba420, v115 :: v_dual_sub_f32 v106, v60, v2
	s_delay_alu instid0(VALU_DEP_4) | instskip(NEXT) | instid1(VALU_DEP_4)
	v_add_f32_e32 v86, v56, v86
	v_add_f32_e32 v81, v56, v81
	s_delay_alu instid0(VALU_DEP_4) | instskip(SKIP_3) | instid1(VALU_DEP_4)
	v_dual_mul_f32 v93, 0xbf763a35, v110 :: v_dual_fmamk_f32 v80, v104, 0xbf763a35, v94
	v_fmamk_f32 v77, v104, 0xbf7ee86f, v96
	v_fmamk_f32 v92, v104, 0x3e3c28d5, v87
	v_fmac_f32_e32 v87, 0xbe3c28d5, v104
	v_fma_f32 v78, 0xbe8c1d8e, v103, -v93
	v_mul_f32_e32 v132, 0xbf7ba420, v119
	v_add_f32_e32 v80, v57, v80
	v_add_f32_e32 v77, v57, v77
	s_delay_alu instid0(VALU_DEP_4) | instskip(NEXT) | instid1(VALU_DEP_4)
	v_dual_add_f32 v87, v57, v87 :: v_dual_add_f32 v78, v56, v78
	v_fmamk_f32 v108, v106, 0xbe3c28d5, v132
	v_dual_mul_f32 v130, 0xbe3c28d5, v112 :: v_dual_add_f32 v91, v56, v91
	v_dual_add_f32 v92, v57, v92 :: v_dual_mul_f32 v139, 0xbf59a7d5, v119
	s_delay_alu instid0(VALU_DEP_3) | instskip(NEXT) | instid1(VALU_DEP_3)
	v_add_f32_e32 v77, v108, v77
	v_fma_f32 v107, 0xbf7ba420, v105, -v130
	v_sub_f32_e32 v116, v63, v1
	v_sub_f32_e32 v120, v69, v51
	v_fmamk_f32 v108, v106, 0x3f06c442, v139
	v_sub_f32_e32 v124, v71, v49
	v_add_f32_e32 v76, v107, v76
	v_fma_f32 v107, 0xbf59a7d5, v105, -v135
	v_mul_f32_e32 v147, 0xbe8c1d8e, v119
	v_mul_f32_e32 v136, 0x3f763a35, v116
	;; [unrolled: 1-line block ×3, first 2 shown]
	v_add_f32_e32 v128, v49, v71
	v_add_f32_e32 v78, v107, v78
	v_dual_mul_f32 v144, 0x3f763a35, v112 :: v_dual_fmamk_f32 v111, v106, 0x3f763a35, v147
	v_mul_f32_e32 v109, 0x3f65296c, v112
	v_mul_f32_e32 v145, 0x3f2c7751, v116
	;; [unrolled: 1-line block ×3, first 2 shown]
	s_delay_alu instid0(VALU_DEP_4) | instskip(SKIP_3) | instid1(VALU_DEP_4)
	v_fma_f32 v107, 0xbe8c1d8e, v105, -v144
	v_add_f32_e32 v82, v111, v82
	v_add_f32_e32 v80, v108, v80
	v_mul_f32_e32 v111, 0x3eb8f4ab, v112
	v_dual_mul_f32 v108, 0x3ee437d1, v119 :: v_dual_add_f32 v81, v107, v81
	v_fmamk_f32 v107, v105, 0x3ee437d1, v109
	v_fma_f32 v109, 0x3ee437d1, v105, -v109
	v_mul_f32_e32 v156, 0xbe3c28d5, v124
	v_mul_f32_e32 v158, 0xbf7ba420, v128
	s_delay_alu instid0(VALU_DEP_4) | instskip(SKIP_4) | instid1(VALU_DEP_4)
	v_dual_mul_f32 v126, 0x3f6eb680, v128 :: v_dual_add_f32 v83, v107, v83
	v_fmamk_f32 v107, v105, 0x3f6eb680, v111
	v_add_f32_e32 v79, v109, v79
	v_mul_f32_e32 v109, 0x3f6eb680, v119
	v_fma_f32 v111, 0x3f6eb680, v105, -v111
	v_dual_mul_f32 v170, 0x3f6eb680, v137 :: v_dual_add_f32 v91, v107, v91
	v_add_f32_e32 v107, v0, v62
	v_fmamk_f32 v113, v106, 0xbf65296c, v108
	v_fmac_f32_e32 v108, 0x3f65296c, v106
	v_dual_add_f32 v86, v111, v86 :: v_dual_mul_f32 v111, 0xbf7ee86f, v116
	v_mul_f32_e32 v166, 0x3f3d2fb0, v137
	v_mul_f32_e32 v176, 0xbf7ba420, v137
	s_delay_alu instid0(VALU_DEP_4) | instskip(SKIP_3) | instid1(VALU_DEP_3)
	v_add_f32_e32 v84, v108, v84
	v_dual_sub_f32 v108, v62, v0 :: v_dual_add_f32 v123, v1, v63
	v_add_f32_e32 v85, v113, v85
	v_fmamk_f32 v113, v106, 0xbeb8f4ab, v109
	v_mul_f32_e32 v140, 0xbe8c1d8e, v123
	s_delay_alu instid0(VALU_DEP_2) | instskip(SKIP_2) | instid1(VALU_DEP_4)
	v_add_f32_e32 v92, v113, v92
	v_fma_f32 v113, 0xbe8c1d8e, v107, -v136
	v_fmac_f32_e32 v109, 0x3eb8f4ab, v106
	v_fmamk_f32 v114, v108, 0x3f763a35, v140
	v_mul_f32_e32 v154, 0x3f6eb680, v123
	v_dual_fmamk_f32 v117, v107, 0x3dbcf732, v111 :: v_dual_mul_f32 v118, 0x3dbcf732, v123
	v_add_f32_e32 v76, v113, v76
	v_add_f32_e32 v87, v109, v87
	s_delay_alu instid0(VALU_DEP_4)
	v_dual_add_f32 v77, v114, v77 :: v_dual_fmamk_f32 v114, v108, 0xbeb8f4ab, v154
	v_mul_f32_e32 v151, 0xbeb8f4ab, v116
	v_fma_f32 v109, 0x3f3d2fb0, v107, -v145
	v_add_f32_e32 v83, v117, v83
	v_fma_f32 v111, 0x3dbcf732, v107, -v111
	v_add_f32_e32 v82, v114, v82
	v_fma_f32 v113, 0x3f6eb680, v107, -v151
	v_mul_f32_e32 v146, 0x3f3d2fb0, v123
	v_add_f32_e32 v78, v109, v78
	s_delay_alu instid0(VALU_DEP_3) | instskip(NEXT) | instid1(VALU_DEP_3)
	v_add_f32_e32 v81, v113, v81
	v_fmamk_f32 v109, v108, 0x3f2c7751, v146
	v_mul_f32_e32 v113, 0xbf06c442, v116
	v_mul_f32_e32 v114, 0xbf59a7d5, v123
	s_delay_alu instid0(VALU_DEP_3) | instskip(NEXT) | instid1(VALU_DEP_1)
	v_dual_add_f32 v80, v109, v80 :: v_dual_fmamk_f32 v109, v108, 0x3f7ee86f, v118
	v_dual_fmac_f32 v118, 0xbf7ee86f, v108 :: v_dual_add_f32 v85, v109, v85
	s_delay_alu instid0(VALU_DEP_4) | instskip(NEXT) | instid1(VALU_DEP_4)
	v_fmamk_f32 v109, v107, 0xbf59a7d5, v113
	v_fmamk_f32 v117, v108, 0x3f06c442, v114
	v_dual_add_f32 v127, v51, v69 :: v_dual_fmac_f32 v114, 0xbf06c442, v108
	s_delay_alu instid0(VALU_DEP_3) | instskip(NEXT) | instid1(VALU_DEP_2)
	v_dual_mul_f32 v150, 0xbf65296c, v120 :: v_dual_add_f32 v91, v109, v91
	v_dual_add_f32 v109, v50, v68 :: v_dual_mul_f32 v148, 0x3f6eb680, v127
	s_delay_alu instid0(VALU_DEP_3) | instskip(SKIP_1) | instid1(VALU_DEP_3)
	v_add_f32_e32 v87, v114, v87
	v_dual_mul_f32 v159, 0xbf59a7d5, v127 :: v_dual_add_f32 v84, v118, v84
	v_fma_f32 v114, 0x3ee437d1, v109, -v150
	s_delay_alu instid0(VALU_DEP_1) | instskip(SKIP_1) | instid1(VALU_DEP_1)
	v_add_f32_e32 v78, v114, v78
	v_fma_f32 v113, 0xbf59a7d5, v107, -v113
	v_dual_add_f32 v86, v113, v86 :: v_dual_add_f32 v79, v111, v79
	v_add_f32_e32 v92, v117, v92
	v_fma_f32 v117, 0x3f6eb680, v109, -v142
	s_delay_alu instid0(VALU_DEP_1) | instskip(NEXT) | instid1(VALU_DEP_1)
	v_dual_sub_f32 v111, v68, v50 :: v_dual_add_f32 v76, v117, v76
	v_dual_mul_f32 v157, 0xbf06c442, v120 :: v_dual_fmamk_f32 v118, v111, 0xbf06c442, v159
	v_fmamk_f32 v113, v111, 0x3eb8f4ab, v148
	v_mul_f32_e32 v117, 0x3f4c4adb, v120
	s_delay_alu instid0(VALU_DEP_3) | instskip(NEXT) | instid1(VALU_DEP_4)
	v_fma_f32 v114, 0xbf59a7d5, v109, -v157
	v_add_f32_e32 v82, v118, v82
	s_delay_alu instid0(VALU_DEP_4) | instskip(NEXT) | instid1(VALU_DEP_3)
	v_dual_mul_f32 v152, 0x3ee437d1, v127 :: v_dual_add_f32 v77, v113, v77
	v_dual_mul_f32 v118, 0x3f2c7751, v120 :: v_dual_add_f32 v81, v114, v81
	v_fmamk_f32 v114, v109, 0xbf1a4643, v117
	s_delay_alu instid0(VALU_DEP_3) | instskip(SKIP_2) | instid1(VALU_DEP_4)
	v_fmamk_f32 v113, v111, 0xbf65296c, v152
	v_fma_f32 v117, 0xbf1a4643, v109, -v117
	v_mul_f32_e32 v153, 0x3ee437d1, v128
	v_dual_add_f32 v83, v114, v83 :: v_dual_fmamk_f32 v114, v109, 0x3f3d2fb0, v118
	s_delay_alu instid0(VALU_DEP_4) | instskip(NEXT) | instid1(VALU_DEP_4)
	v_dual_add_f32 v80, v113, v80 :: v_dual_mul_f32 v113, 0xbf1a4643, v127
	v_add_f32_e32 v79, v117, v79
	v_mul_f32_e32 v117, 0x3f3d2fb0, v127
	s_delay_alu instid0(VALU_DEP_4) | instskip(NEXT) | instid1(VALU_DEP_4)
	v_add_f32_e32 v91, v114, v91
	v_dual_sub_f32 v114, v70, v48 :: v_dual_fmamk_f32 v121, v111, 0xbf4c4adb, v113
	v_fmac_f32_e32 v113, 0x3f4c4adb, v111
	v_fma_f32 v118, 0x3f3d2fb0, v109, -v118
	s_delay_alu instid0(VALU_DEP_3) | instskip(NEXT) | instid1(VALU_DEP_3)
	v_fmamk_f32 v122, v114, 0xbf65296c, v153
	v_add_f32_e32 v84, v113, v84
	v_add_f32_e32 v85, v121, v85
	s_delay_alu instid0(VALU_DEP_4) | instskip(SKIP_1) | instid1(VALU_DEP_2)
	v_dual_fmamk_f32 v121, v111, 0xbf2c7751, v117 :: v_dual_add_f32 v86, v118, v86
	v_dual_add_f32 v113, v48, v70 :: v_dual_mul_f32 v118, 0xbeb8f4ab, v124
	v_dual_add_f32 v77, v122, v77 :: v_dual_add_f32 v92, v121, v92
	v_fmac_f32_e32 v117, 0x3f2c7751, v111
	s_delay_alu instid0(VALU_DEP_1) | instskip(NEXT) | instid1(VALU_DEP_4)
	v_add_f32_e32 v87, v117, v87
	v_fma_f32 v117, 0xbf7ba420, v113, -v156
	s_delay_alu instid0(VALU_DEP_1) | instskip(NEXT) | instid1(VALU_DEP_1)
	v_dual_mul_f32 v149, 0xbf65296c, v124 :: v_dual_add_f32 v78, v117, v78
	v_fma_f32 v121, 0x3ee437d1, v113, -v149
	v_fmamk_f32 v125, v113, 0x3f6eb680, v118
	v_fma_f32 v118, 0x3f6eb680, v113, -v118
	s_delay_alu instid0(VALU_DEP_3) | instskip(NEXT) | instid1(VALU_DEP_3)
	v_dual_add_f32 v76, v121, v76 :: v_dual_add_f32 v131, v55, v73
	v_add_f32_e32 v83, v125, v83
	s_delay_alu instid0(VALU_DEP_2) | instskip(SKIP_4) | instid1(VALU_DEP_2)
	v_mul_f32_e32 v172, 0x3f3d2fb0, v131
	v_sub_f32_e32 v129, v73, v55
	v_dual_add_f32 v79, v118, v79 :: v_dual_sub_f32 v118, v72, v54
	v_dual_mul_f32 v163, 0x3f7ee86f, v124 :: v_dual_fmamk_f32 v122, v114, 0x3f7ee86f, v165
	v_mul_f32_e32 v164, 0x3dbcf732, v131
	v_fma_f32 v121, 0x3dbcf732, v113, -v163
	s_delay_alu instid0(VALU_DEP_3) | instskip(NEXT) | instid1(VALU_DEP_2)
	v_add_f32_e32 v82, v122, v82
	v_dual_mul_f32 v122, 0xbf1a4643, v128 :: v_dual_add_f32 v81, v121, v81
	v_mul_f32_e32 v121, 0xbf4c4adb, v124
	s_delay_alu instid0(VALU_DEP_2) | instskip(SKIP_2) | instid1(VALU_DEP_3)
	v_fmamk_f32 v125, v114, 0x3f4c4adb, v122
	v_fmamk_f32 v117, v114, 0xbe3c28d5, v158
	v_fmac_f32_e32 v122, 0xbf4c4adb, v114
	v_add_f32_e32 v92, v125, v92
	s_delay_alu instid0(VALU_DEP_3) | instskip(NEXT) | instid1(VALU_DEP_1)
	v_dual_add_f32 v80, v117, v80 :: v_dual_fmamk_f32 v117, v114, 0x3eb8f4ab, v126
	v_dual_fmac_f32 v126, 0xbeb8f4ab, v114 :: v_dual_add_f32 v85, v117, v85
	s_delay_alu instid0(VALU_DEP_1)
	v_add_f32_e32 v84, v126, v84
	v_fmamk_f32 v126, v118, 0xbf2c7751, v172
	v_fmamk_f32 v117, v113, 0xbf1a4643, v121
	v_mul_f32_e32 v155, 0xbf06c442, v129
	v_fma_f32 v121, 0xbf1a4643, v113, -v121
	v_mul_f32_e32 v162, 0x3f7ee86f, v129
	s_delay_alu instid0(VALU_DEP_4) | instskip(SKIP_1) | instid1(VALU_DEP_4)
	v_dual_add_f32 v82, v126, v82 :: v_dual_add_f32 v91, v117, v91
	v_dual_mul_f32 v126, 0x3f65296c, v129 :: v_dual_add_f32 v117, v54, v72
	v_dual_add_f32 v86, v121, v86 :: v_dual_mul_f32 v169, 0xbf2c7751, v129
	s_delay_alu instid0(VALU_DEP_2) | instskip(NEXT) | instid1(VALU_DEP_1)
	v_fma_f32 v125, 0xbf59a7d5, v117, -v155
	v_dual_add_f32 v76, v125, v76 :: v_dual_mul_f32 v125, 0xbe3c28d5, v129
	v_add_f32_e32 v87, v122, v87
	v_fma_f32 v122, 0x3dbcf732, v117, -v162
	v_mul_f32_e32 v160, 0xbf59a7d5, v131
	s_delay_alu instid0(VALU_DEP_2) | instskip(SKIP_1) | instid1(VALU_DEP_1)
	v_add_f32_e32 v78, v122, v78
	v_fma_f32 v122, 0x3f3d2fb0, v117, -v169
	v_dual_add_f32 v81, v122, v81 :: v_dual_fmamk_f32 v122, v117, 0xbf7ba420, v125
	s_delay_alu instid0(VALU_DEP_1) | instskip(SKIP_1) | instid1(VALU_DEP_2)
	v_dual_add_f32 v83, v122, v83 :: v_dual_fmamk_f32 v122, v117, 0x3ee437d1, v126
	v_fma_f32 v126, 0x3ee437d1, v117, -v126
	v_add_f32_e32 v91, v122, v91
	s_delay_alu instid0(VALU_DEP_2) | instskip(SKIP_1) | instid1(VALU_DEP_1)
	v_add_f32_e32 v86, v126, v86
	v_fma_f32 v125, 0xbf7ba420, v117, -v125
	v_dual_sub_f32 v122, v74, v52 :: v_dual_add_f32 v79, v125, v79
	v_mul_f32_e32 v125, 0x3ee437d1, v131
	s_delay_alu instid0(VALU_DEP_1) | instskip(SKIP_1) | instid1(VALU_DEP_2)
	v_fmamk_f32 v141, v118, 0xbf65296c, v125
	v_fmamk_f32 v121, v118, 0xbf06c442, v160
	v_dual_fmac_f32 v125, 0x3f65296c, v118 :: v_dual_add_f32 v92, v141, v92
	s_delay_alu instid0(VALU_DEP_2) | instskip(SKIP_1) | instid1(VALU_DEP_3)
	v_add_f32_e32 v77, v121, v77
	v_fmamk_f32 v121, v118, 0x3f7ee86f, v164
	v_add_f32_e32 v87, v125, v87
	s_delay_alu instid0(VALU_DEP_2) | instskip(NEXT) | instid1(VALU_DEP_1)
	v_dual_add_f32 v80, v121, v80 :: v_dual_mul_f32 v121, 0xbf7ba420, v131
	v_fmamk_f32 v133, v118, 0x3e3c28d5, v121
	s_delay_alu instid0(VALU_DEP_1) | instskip(SKIP_1) | instid1(VALU_DEP_1)
	v_add_f32_e32 v85, v133, v85
	v_sub_f32_e32 v133, v75, v53
	v_dual_fmac_f32 v121, 0xbe3c28d5, v118 :: v_dual_mul_f32 v174, 0xbe3c28d5, v133
	s_delay_alu instid0(VALU_DEP_1) | instskip(SKIP_1) | instid1(VALU_DEP_1)
	v_dual_add_f32 v84, v121, v84 :: v_dual_add_f32 v121, v52, v74
	v_mul_f32_e32 v168, 0xbeb8f4ab, v133
	v_fma_f32 v125, 0x3f6eb680, v121, -v168
	s_delay_alu instid0(VALU_DEP_1) | instskip(NEXT) | instid1(VALU_DEP_1)
	v_dual_add_f32 v179, v125, v78 :: v_dual_fmamk_f32 v78, v122, 0xbeb8f4ab, v170
	v_add_f32_e32 v80, v78, v80
	v_fmamk_f32 v78, v122, 0xbf2c7751, v166
	v_mul_f32_e32 v126, 0x3f2c7751, v133
	v_mul_f32_e32 v167, 0xbf1a4643, v137
	v_fmac_f32_e32 v166, 0x3f2c7751, v122
	v_mul_f32_e32 v161, 0x3f4c4adb, v133
	s_delay_alu instid0(VALU_DEP_3) | instskip(NEXT) | instid1(VALU_DEP_3)
	v_fmamk_f32 v143, v122, 0x3f4c4adb, v167
	v_add_f32_e32 v84, v166, v84
	s_delay_alu instid0(VALU_DEP_3) | instskip(NEXT) | instid1(VALU_DEP_1)
	v_fma_f32 v141, 0xbf1a4643, v121, -v161
	v_dual_add_f32 v77, v143, v77 :: v_dual_add_f32 v76, v141, v76
	v_fmamk_f32 v141, v122, 0xbe3c28d5, v176
	s_delay_alu instid0(VALU_DEP_1) | instskip(SKIP_4) | instid1(VALU_DEP_4)
	v_add_f32_e32 v180, v141, v82
	v_mul_f32_e32 v82, 0xbf763a35, v133
	v_add_f32_e32 v85, v78, v85
	v_fma_f32 v125, 0xbf7ba420, v121, -v174
	v_sub_f32_e32 v141, v65, v67
	v_fmamk_f32 v78, v121, 0xbe8c1d8e, v82
	s_delay_alu instid0(VALU_DEP_2) | instskip(SKIP_1) | instid1(VALU_DEP_3)
	v_mul_f32_e32 v166, 0x3f2c7751, v141
	v_mul_f32_e32 v177, 0x3f65296c, v141
	v_add_f32_e32 v183, v78, v91
	v_fma_f32 v78, 0xbe8c1d8e, v121, -v82
	v_fmamk_f32 v143, v121, 0x3f3d2fb0, v126
	s_delay_alu instid0(VALU_DEP_2) | instskip(NEXT) | instid1(VALU_DEP_2)
	v_dual_mul_f32 v91, 0xbf763a35, v141 :: v_dual_add_f32 v86, v78, v86
	v_add_f32_e32 v181, v143, v83
	v_add_f32_e32 v143, v67, v65
	s_delay_alu instid0(VALU_DEP_1) | instskip(SKIP_4) | instid1(VALU_DEP_3)
	v_mul_f32_e32 v171, 0x3f3d2fb0, v143
	v_add_f32_e32 v81, v125, v81
	v_fma_f32 v125, 0x3f3d2fb0, v121, -v126
	v_mul_f32_e32 v178, 0x3ee437d1, v143
	v_mul_f32_e32 v175, 0xbf1a4643, v143
	v_dual_add_f32 v182, v125, v79 :: v_dual_add_f32 v125, v66, v64
	v_mul_f32_e32 v83, 0xbe8c1d8e, v137
	s_delay_alu instid0(VALU_DEP_2) | instskip(NEXT) | instid1(VALU_DEP_2)
	v_fma_f32 v79, 0x3f3d2fb0, v125, -v166
	v_fmamk_f32 v126, v122, 0x3f763a35, v83
	s_delay_alu instid0(VALU_DEP_2) | instskip(NEXT) | instid1(VALU_DEP_2)
	v_add_f32_e32 v78, v79, v76
	v_add_f32_e32 v184, v126, v92
	v_sub_f32_e32 v126, v64, v66
	s_delay_alu instid0(VALU_DEP_1) | instskip(NEXT) | instid1(VALU_DEP_1)
	v_fmamk_f32 v82, v126, 0x3f2c7751, v171
	v_add_f32_e32 v79, v82, v77
	v_fmamk_f32 v77, v126, 0xbf4c4adb, v175
	v_fma_f32 v82, 0x3ee437d1, v125, -v177
	s_delay_alu instid0(VALU_DEP_2) | instskip(SKIP_1) | instid1(VALU_DEP_3)
	v_add_f32_e32 v77, v77, v80
	v_fmamk_f32 v80, v125, 0xbe8c1d8e, v91
	v_dual_fmac_f32 v83, 0xbf763a35, v122 :: v_dual_add_f32 v82, v82, v81
	v_mul_f32_e32 v173, 0xbf4c4adb, v141
	s_delay_alu instid0(VALU_DEP_2) | instskip(SKIP_1) | instid1(VALU_DEP_3)
	v_add_f32_e32 v87, v83, v87
	v_fmamk_f32 v83, v126, 0x3f65296c, v178
	v_fma_f32 v76, 0xbf1a4643, v125, -v173
	s_delay_alu instid0(VALU_DEP_2) | instskip(SKIP_1) | instid1(VALU_DEP_3)
	v_add_f32_e32 v83, v83, v180
	v_fma_f32 v180, 0xbe8c1d8e, v125, -v91
	v_add_f32_e32 v76, v76, v179
	v_add_f32_e32 v91, v80, v181
	s_delay_alu instid0(VALU_DEP_3) | instskip(SKIP_2) | instid1(VALU_DEP_2)
	v_dual_mul_f32 v181, 0x3f7ee86f, v141 :: v_dual_add_f32 v80, v180, v182
	v_mul_f32_e32 v179, 0xbe8c1d8e, v143
	v_mul_f32_e32 v185, 0x3dbcf732, v143
	v_fmamk_f32 v81, v126, 0x3f763a35, v179
	s_delay_alu instid0(VALU_DEP_2) | instskip(SKIP_1) | instid1(VALU_DEP_3)
	v_fmamk_f32 v180, v126, 0xbf7ee86f, v185
	v_fmac_f32_e32 v179, 0xbf763a35, v126
	v_dual_fmac_f32 v185, 0x3f7ee86f, v126 :: v_dual_add_f32 v92, v81, v85
	v_fmamk_f32 v85, v125, 0x3dbcf732, v181
	v_fma_f32 v181, 0x3dbcf732, v125, -v181
	s_delay_alu instid0(VALU_DEP_4) | instskip(NEXT) | instid1(VALU_DEP_4)
	v_add_f32_e32 v81, v179, v84
	v_add_f32_e32 v87, v185, v87
	s_delay_alu instid0(VALU_DEP_4) | instskip(NEXT) | instid1(VALU_DEP_4)
	v_dual_add_f32 v84, v85, v183 :: v_dual_add_f32 v85, v180, v184
	v_add_f32_e32 v86, v181, v86
	s_and_saveexec_b32 s1, vcc_lo
	s_cbranch_execz .LBB0_17
; %bb.16:
	v_mul_f32_e32 v184, 0xbf4c4adb, v104
	v_mul_f32_e32 v179, 0x3dbcf732, v103
	;; [unrolled: 1-line block ×3, first 2 shown]
	v_dual_mul_f32 v202, 0xbf06c442, v111 :: v_dual_mul_f32 v209, 0xbf06c442, v118
	s_delay_alu instid0(VALU_DEP_4) | instskip(SKIP_3) | instid1(VALU_DEP_4)
	v_dual_sub_f32 v138, v138, v184 :: v_dual_mul_f32 v181, 0xbe8c1d8e, v103
	v_mul_f32_e32 v182, 0xbf763a35, v104
	v_mul_f32_e32 v208, 0x3f7ee86f, v114
	;; [unrolled: 1-line block ×3, first 2 shown]
	v_add_f32_e32 v138, v57, v138
	v_dual_mul_f32 v206, 0xbe3c28d5, v114 :: v_dual_add_f32 v93, v181, v93
	v_mul_f32_e32 v212, 0xbf2c7751, v118
	v_mul_f32_e32 v195, 0x3f6eb680, v107
	;; [unrolled: 1-line block ×3, first 2 shown]
	s_delay_alu instid0(VALU_DEP_4) | instskip(SKIP_4) | instid1(VALU_DEP_4)
	v_dual_mul_f32 v194, 0x3f2c7751, v108 :: v_dual_add_f32 v93, v56, v93
	v_mul_f32_e32 v190, 0x3f763a35, v106
	v_mul_f32_e32 v180, 0xbf7ee86f, v104
	v_dual_add_f32 v58, v58, v56 :: v_dual_add_f32 v95, v179, v95
	v_add_f32_e32 v59, v59, v57
	v_sub_f32_e32 v147, v147, v190
	v_mul_f32_e32 v183, 0xbf1a4643, v103
	v_mul_f32_e32 v190, 0x3f3d2fb0, v117
	v_add_f32_e32 v145, v193, v145
	s_delay_alu instid0(VALU_DEP_4) | instskip(NEXT) | instid1(VALU_DEP_4)
	v_dual_add_f32 v95, v56, v95 :: v_dual_add_f32 v138, v147, v138
	v_dual_mul_f32 v185, 0xbf7ba420, v105 :: v_dual_add_f32 v134, v183, v134
	v_mul_f32_e32 v183, 0xbeb8f4ab, v122
	v_dual_mul_f32 v186, 0xbe3c28d5, v106 :: v_dual_sub_f32 v147, v154, v196
	v_mul_f32_e32 v187, 0xbf59a7d5, v105
	s_delay_alu instid0(VALU_DEP_4) | instskip(NEXT) | instid1(VALU_DEP_3)
	v_dual_mul_f32 v189, 0xbe8c1d8e, v105 :: v_dual_add_f32 v134, v56, v134
	v_dual_mul_f32 v191, 0xbe8c1d8e, v107 :: v_dual_add_f32 v138, v147, v138
	s_delay_alu instid0(VALU_DEP_2) | instskip(SKIP_3) | instid1(VALU_DEP_4)
	v_dual_sub_f32 v147, v159, v202 :: v_dual_add_f32 v144, v189, v144
	v_mul_f32_e32 v197, 0x3f6eb680, v109
	v_mul_f32_e32 v199, 0x3ee437d1, v109
	;; [unrolled: 1-line block ×3, first 2 shown]
	v_add_f32_e32 v138, v147, v138
	v_dual_add_f32 v134, v144, v134 :: v_dual_sub_f32 v147, v165, v208
	v_dual_mul_f32 v201, 0xbf59a7d5, v109 :: v_dual_add_f32 v144, v195, v151
	v_mul_f32_e32 v203, 0x3ee437d1, v113
	s_delay_alu instid0(VALU_DEP_3) | instskip(SKIP_1) | instid1(VALU_DEP_4)
	v_dual_mul_f32 v205, 0xbf7ba420, v113 :: v_dual_add_f32 v138, v147, v138
	v_sub_f32_e32 v147, v172, v212
	v_dual_add_f32 v134, v144, v134 :: v_dual_mul_f32 v207, 0x3dbcf732, v113
	v_dual_mul_f32 v211, 0x3f7ee86f, v118 :: v_dual_add_f32 v144, v201, v157
	s_delay_alu instid0(VALU_DEP_3) | instskip(SKIP_2) | instid1(VALU_DEP_4)
	v_add_f32_e32 v138, v147, v138
	v_mul_f32_e32 v159, 0xbe3c28d5, v122
	v_dual_mul_f32 v184, 0xbf59a7d5, v117 :: v_dual_add_f32 v135, v187, v135
	v_dual_mul_f32 v213, 0xbf1a4643, v121 :: v_dual_add_f32 v134, v144, v134
	v_dual_mul_f32 v189, 0x3f3d2fb0, v125 :: v_dual_sub_f32 v94, v94, v182
	v_mul_f32_e32 v172, 0x3f65296c, v126
	v_add_f32_e32 v144, v207, v163
	v_dual_mul_f32 v192, 0x3f763a35, v108 :: v_dual_sub_f32 v147, v176, v159
	v_mul_f32_e32 v198, 0x3eb8f4ab, v111
	v_dual_mul_f32 v200, 0xbf65296c, v111 :: v_dual_add_f32 v163, v57, v94
	v_dual_mul_f32 v204, 0xbf65296c, v114 :: v_dual_sub_f32 v139, v139, v188
	v_dual_mul_f32 v214, 0x3f4c4adb, v122 :: v_dual_add_f32 v135, v135, v93
	v_mul_f32_e32 v196, 0xbf7ba420, v121
	v_dual_mul_f32 v165, 0xbf1a4643, v125 :: v_dual_add_f32 v138, v147, v138
	v_dual_mul_f32 v159, 0x3ee437d1, v125 :: v_dual_add_f32 v134, v144, v134
	v_sub_f32_e32 v147, v178, v172
	v_dual_add_f32 v144, v190, v169 :: v_dual_add_f32 v135, v145, v135
	v_mul_f32_e32 v151, 0x3f2c7751, v126
	v_add_f32_e32 v139, v139, v163
	s_delay_alu instid0(VALU_DEP_4) | instskip(NEXT) | instid1(VALU_DEP_4)
	v_add_f32_e32 v94, v147, v138
	v_add_f32_e32 v134, v144, v134
	;; [unrolled: 1-line block ×3, first 2 shown]
	v_sub_f32_e32 v144, v146, v194
	v_mul_f32_e32 v210, 0x3dbcf732, v117
	v_add_f32_e32 v130, v185, v130
	v_sub_f32_e32 v96, v96, v180
	s_delay_alu instid0(VALU_DEP_4) | instskip(SKIP_3) | instid1(VALU_DEP_3)
	v_dual_add_f32 v134, v138, v134 :: v_dual_add_f32 v139, v144, v139
	v_add_f32_e32 v138, v159, v177
	v_sub_f32_e32 v144, v152, v200
	v_dual_sub_f32 v132, v132, v186 :: v_dual_add_f32 v95, v130, v95
	v_dual_add_f32 v130, v191, v136 :: v_dual_add_f32 v93, v138, v134
	s_delay_alu instid0(VALU_DEP_3) | instskip(SKIP_2) | instid1(VALU_DEP_4)
	v_dual_add_f32 v134, v144, v139 :: v_dual_add_f32 v139, v199, v150
	v_sub_f32_e32 v138, v158, v206
	v_dual_add_f32 v136, v165, v173 :: v_dual_mul_f32 v147, 0xbf4c4adb, v112
	v_add_f32_e32 v130, v130, v95
	s_delay_alu instid0(VALU_DEP_4) | instskip(SKIP_3) | instid1(VALU_DEP_3)
	v_add_f32_e32 v135, v139, v135
	v_add_f32_e32 v139, v205, v156
	v_dual_mul_f32 v146, 0x3f3d2fb0, v128 :: v_dual_add_f32 v59, v61, v59
	v_mul_f32_e32 v145, 0xbe8c1d8e, v127
	v_dual_mul_f32 v150, 0x3dbcf732, v137 :: v_dual_add_f32 v135, v139, v135
	v_add_f32_e32 v139, v210, v162
	s_delay_alu instid0(VALU_DEP_4)
	v_add_f32_e32 v59, v63, v59
	v_mul_f32_e32 v157, 0xbf4c4adb, v126
	v_mul_f32_e32 v172, 0x3f06c442, v124
	v_add_f32_e32 v144, v184, v155
	v_dual_add_f32 v135, v139, v135 :: v_dual_add_f32 v96, v57, v96
	v_sub_f32_e32 v139, v153, v204
	v_dual_fmamk_f32 v153, v122, 0x3f7ee86f, v150 :: v_dual_add_f32 v152, v189, v166
	s_delay_alu instid0(VALU_DEP_3) | instskip(SKIP_3) | instid1(VALU_DEP_3)
	v_dual_mul_f32 v61, 0x3eb8f4ab, v141 :: v_dual_add_f32 v96, v132, v96
	v_sub_f32_e32 v132, v140, v192
	v_dual_add_f32 v140, v154, v168 :: v_dual_mul_f32 v155, 0xbf59a7d5, v143
	v_mul_f32_e32 v168, 0x3ee437d1, v137
	v_dual_mul_f32 v159, 0xbf1a4643, v123 :: v_dual_add_f32 v96, v132, v96
	s_delay_alu instid0(VALU_DEP_3) | instskip(SKIP_3) | instid1(VALU_DEP_4)
	v_dual_add_f32 v135, v140, v135 :: v_dual_add_f32 v134, v138, v134
	v_sub_f32_e32 v132, v148, v198
	v_mul_f32_e32 v140, 0x3ee437d1, v115
	v_dual_mul_f32 v148, 0x3f6eb680, v131 :: v_dual_fmamk_f32 v63, v125, 0x3f6eb680, v61
	v_add_f32_e32 v95, v136, v135
	v_mul_f32_e32 v136, 0xbf1a4643, v119
	v_sub_f32_e32 v138, v164, v211
	v_dual_add_f32 v132, v132, v96 :: v_dual_add_f32 v135, v203, v149
	v_mul_f32_e32 v149, 0x3e3c28d5, v116
	v_mul_f32_e32 v164, 0xbf7ee86f, v112
	s_delay_alu instid0(VALU_DEP_3)
	v_dual_mul_f32 v165, 0xbe8c1d8e, v131 :: v_dual_add_f32 v132, v139, v132
	v_fmamk_f32 v139, v106, 0x3f4c4adb, v136
	v_add_f32_e32 v134, v138, v134
	v_sub_f32_e32 v138, v170, v183
	v_fmamk_f32 v166, v105, 0x3dbcf732, v164
	v_mul_f32_e32 v169, 0xbe3c28d5, v120
	v_mul_f32_e32 v156, 0x3dbcf732, v119
	s_delay_alu instid0(VALU_DEP_4) | instskip(SKIP_3) | instid1(VALU_DEP_4)
	v_dual_mul_f32 v119, 0x3f3d2fb0, v119 :: v_dual_add_f32 v134, v138, v134
	v_sub_f32_e32 v138, v175, v157
	v_mul_f32_e32 v162, 0xbf7ba420, v127
	v_mul_f32_e32 v173, 0x3f65296c, v133
	v_fmamk_f32 v174, v106, 0x3f2c7751, v119
	s_delay_alu instid0(VALU_DEP_4) | instskip(SKIP_4) | instid1(VALU_DEP_4)
	v_dual_mul_f32 v157, 0xbf7ee86f, v133 :: v_dual_add_f32 v96, v138, v134
	v_sub_f32_e32 v134, v160, v209
	v_fmamk_f32 v160, v126, 0x3f06c442, v155
	v_add_f32_e32 v138, v197, v142
	v_mul_f32_e32 v142, 0xbf7ba420, v123
	v_dual_mul_f32 v127, 0x3dbcf732, v127 :: v_dual_add_f32 v132, v134, v132
	v_sub_f32_e32 v134, v167, v214
	s_delay_alu instid0(VALU_DEP_4) | instskip(SKIP_1) | instid1(VALU_DEP_3)
	v_dual_add_f32 v130, v138, v130 :: v_dual_mul_f32 v167, 0xbf4c4adb, v116
	v_dual_sub_f32 v138, v171, v151 :: v_dual_fmamk_f32 v171, v122, 0xbf65296c, v168
	v_add_f32_e32 v132, v134, v132
	v_fmamk_f32 v134, v104, 0x3f65296c, v140
	s_delay_alu instid0(VALU_DEP_4) | instskip(SKIP_1) | instid1(VALU_DEP_3)
	v_dual_add_f32 v130, v135, v130 :: v_dual_mul_f32 v123, 0x3ee437d1, v123
	v_add_f32_e32 v59, v69, v59
	v_dual_add_f32 v135, v138, v132 :: v_dual_add_f32 v134, v57, v134
	s_delay_alu instid0(VALU_DEP_3)
	v_add_f32_e32 v130, v144, v130
	v_add_f32_e32 v138, v213, v161
	v_mul_f32_e32 v144, 0xbf65296c, v110
	v_mul_f32_e32 v69, 0xbeb8f4ab, v110
	v_add_f32_e32 v132, v139, v134
	v_fmamk_f32 v134, v108, 0xbe3c28d5, v142
	v_add_f32_e32 v130, v138, v130
	v_fmamk_f32 v138, v103, 0x3ee437d1, v144
	v_dual_fmamk_f32 v139, v105, 0xbf1a4643, v147 :: v_dual_add_f32 v58, v60, v58
	s_delay_alu instid0(VALU_DEP_4) | instskip(SKIP_1) | instid1(VALU_DEP_4)
	v_add_f32_e32 v132, v134, v132
	v_fmamk_f32 v134, v111, 0xbf763a35, v145
	v_dual_add_f32 v138, v56, v138 :: v_dual_mul_f32 v151, 0x3f763a35, v120
	v_dual_mul_f32 v154, 0x3f2c7751, v124 :: v_dual_add_f32 v59, v71, v59
	s_delay_alu instid0(VALU_DEP_3) | instskip(SKIP_1) | instid1(VALU_DEP_4)
	v_add_f32_e32 v132, v134, v132
	v_fmamk_f32 v134, v114, 0xbf2c7751, v146
	v_add_f32_e32 v138, v139, v138
	v_fmamk_f32 v139, v107, 0xbf7ba420, v149
	v_fmamk_f32 v161, v108, 0x3f4c4adb, v159
	v_fmac_f32_e32 v159, 0xbf4c4adb, v108
	v_add_f32_e32 v132, v134, v132
	v_fmamk_f32 v134, v118, 0x3eb8f4ab, v148
	v_add_f32_e32 v58, v62, v58
	v_dual_add_f32 v138, v139, v138 :: v_dual_add_f32 v59, v73, v59
	s_delay_alu instid0(VALU_DEP_3) | instskip(NEXT) | instid1(VALU_DEP_3)
	v_dual_fmamk_f32 v139, v109, 0xbe8c1d8e, v151 :: v_dual_add_f32 v132, v134, v132
	v_add_f32_e32 v58, v68, v58
	s_delay_alu instid0(VALU_DEP_3) | instskip(SKIP_1) | instid1(VALU_DEP_4)
	v_dual_add_f32 v134, v152, v130 :: v_dual_add_f32 v59, v75, v59
	v_dual_mul_f32 v68, 0xbf2c7751, v112 :: v_dual_fmac_f32 v119, 0xbf2c7751, v106
	v_add_f32_e32 v130, v153, v132
	s_delay_alu instid0(VALU_DEP_4)
	v_add_f32_e32 v58, v70, v58
	v_mul_f32_e32 v70, 0xbf59a7d5, v137
	v_add_f32_e32 v132, v139, v138
	v_fmamk_f32 v138, v113, 0x3f3d2fb0, v154
	v_mul_f32_e32 v153, 0xbeb8f4ab, v129
	v_add_f32_e32 v59, v65, v59
	v_dual_mul_f32 v152, 0x3f3d2fb0, v115 :: v_dual_fmamk_f32 v71, v105, 0x3f3d2fb0, v68
	v_dual_add_f32 v58, v72, v58 :: v_dual_fmamk_f32 v73, v122, 0x3f06c442, v70
	v_add_f32_e32 v132, v138, v132
	s_delay_alu instid0(VALU_DEP_4) | instskip(NEXT) | instid1(VALU_DEP_4)
	v_dual_fmamk_f32 v138, v117, 0x3f6eb680, v153 :: v_dual_add_f32 v59, v67, v59
	v_fmamk_f32 v139, v104, 0x3f2c7751, v152
	v_mul_f32_e32 v72, 0xbf65296c, v116
	v_add_f32_e32 v58, v74, v58
	s_delay_alu instid0(VALU_DEP_4) | instskip(NEXT) | instid1(VALU_DEP_4)
	v_dual_add_f32 v132, v138, v132 :: v_dual_add_f32 v53, v53, v59
	v_add_f32_e32 v139, v57, v139
	s_delay_alu instid0(VALU_DEP_4) | instskip(SKIP_1) | instid1(VALU_DEP_4)
	v_fmamk_f32 v65, v107, 0x3ee437d1, v72
	v_fmamk_f32 v138, v121, 0x3dbcf732, v157
	v_dual_add_f32 v58, v64, v58 :: v_dual_add_f32 v53, v55, v53
	v_fmamk_f32 v158, v106, 0x3f7ee86f, v156
	v_mul_f32_e32 v59, 0xbf7ba420, v143
	s_delay_alu instid0(VALU_DEP_3) | instskip(NEXT) | instid1(VALU_DEP_3)
	v_dual_mul_f32 v55, 0xbf4c4adb, v129 :: v_dual_add_f32 v58, v66, v58
	v_dual_add_f32 v53, v49, v53 :: v_dual_add_f32 v158, v158, v139
	v_dual_add_f32 v139, v160, v130 :: v_dual_add_f32 v130, v138, v132
	v_mul_f32_e32 v160, 0xbf2c7751, v110
	s_delay_alu instid0(VALU_DEP_4) | instskip(NEXT) | instid1(VALU_DEP_4)
	v_add_f32_e32 v52, v52, v58
	v_add_f32_e32 v132, v161, v158
	v_dual_mul_f32 v158, 0xbf59a7d5, v128 :: v_dual_add_f32 v51, v51, v53
	s_delay_alu instid0(VALU_DEP_4)
	v_fmamk_f32 v163, v103, 0x3f3d2fb0, v160
	v_fmamk_f32 v58, v126, 0x3e3c28d5, v59
	;; [unrolled: 1-line block ×3, first 2 shown]
	v_mul_f32_e32 v161, 0xbf06c442, v141
	v_add_f32_e32 v1, v1, v51
	v_dual_add_f32 v163, v56, v163 :: v_dual_fmac_f32 v152, 0xbf2c7751, v104
	s_delay_alu instid0(VALU_DEP_4) | instskip(NEXT) | instid1(VALU_DEP_3)
	v_add_f32_e32 v132, v138, v132
	v_dual_fmamk_f32 v138, v114, 0xbf06c442, v158 :: v_dual_add_f32 v1, v3, v1
	s_delay_alu instid0(VALU_DEP_3) | instskip(SKIP_1) | instid1(VALU_DEP_3)
	v_dual_add_f32 v163, v166, v163 :: v_dual_fmamk_f32 v166, v107, 0xbf1a4643, v167
	v_fmamk_f32 v170, v125, 0xbf59a7d5, v161
	v_add_f32_e32 v132, v138, v132
	v_fmamk_f32 v138, v118, 0xbf763a35, v165
	v_add_f32_e32 v1, v90, v1
	v_dual_add_f32 v163, v166, v163 :: v_dual_fmamk_f32 v166, v109, 0xbf7ba420, v169
	v_dual_add_f32 v52, v54, v52 :: v_dual_fmac_f32 v155, 0xbf06c442, v126
	s_delay_alu instid0(VALU_DEP_4) | instskip(SKIP_3) | instid1(VALU_DEP_4)
	v_add_f32_e32 v132, v138, v132
	v_dual_add_f32 v138, v170, v130 :: v_dual_fmac_f32 v145, 0x3f763a35, v111
	v_mul_f32_e32 v170, 0x3f6eb680, v143
	v_fmac_f32_e32 v162, 0xbe3c28d5, v111
	v_add_f32_e32 v130, v171, v132
	v_dual_add_f32 v132, v166, v163 :: v_dual_fmamk_f32 v163, v113, 0xbf59a7d5, v172
	v_mul_f32_e32 v166, 0x3f763a35, v129
	v_fmamk_f32 v175, v126, 0xbeb8f4ab, v170
	v_fmamk_f32 v176, v121, 0x3ee437d1, v173
	v_fmac_f32_e32 v158, 0x3f06c442, v114
	s_delay_alu instid0(VALU_DEP_4)
	v_dual_add_f32 v132, v163, v132 :: v_dual_fmamk_f32 v163, v117, 0xbe8c1d8e, v166
	v_mul_f32_e32 v60, 0xbf1a4643, v131
	v_fmac_f32_e32 v165, 0x3f763a35, v118
	v_fmamk_f32 v54, v117, 0xbf1a4643, v55
	v_dual_add_f32 v48, v48, v52 :: v_dual_fmac_f32 v59, 0xbe3c28d5, v126
	v_add_f32_e32 v163, v163, v132
	v_add_f32_e32 v132, v175, v130
	v_fmac_f32_e32 v156, 0xbf7ee86f, v106
	s_delay_alu instid0(VALU_DEP_4) | instskip(NEXT) | instid1(VALU_DEP_4)
	v_dual_add_f32 v48, v50, v48 :: v_dual_mul_f32 v115, 0x3f6eb680, v115
	v_add_f32_e32 v130, v176, v163
	v_fmac_f32_e32 v140, 0xbf65296c, v104
	v_fmac_f32_e32 v136, 0xbf4c4adb, v106
	s_delay_alu instid0(VALU_DEP_4) | instskip(SKIP_4) | instid1(VALU_DEP_4)
	v_add_f32_e32 v0, v0, v48
	v_fmamk_f32 v171, v104, 0x3eb8f4ab, v115
	v_add_f32_e32 v131, v63, v130
	v_fmamk_f32 v63, v103, 0x3f6eb680, v69
	v_add_f32_e32 v3, v57, v140
	v_dual_add_f32 v0, v2, v0 :: v_dual_add_f32 v171, v57, v171
	s_delay_alu instid0(VALU_DEP_3) | instskip(NEXT) | instid1(VALU_DEP_3)
	v_dual_fmac_f32 v142, 0x3e3c28d5, v108 :: v_dual_add_f32 v63, v56, v63
	v_add_f32_e32 v2, v136, v3
	v_fmac_f32_e32 v146, 0x3f2c7751, v114
	v_fmac_f32_e32 v148, 0xbeb8f4ab, v118
	s_delay_alu instid0(VALU_DEP_4) | instskip(NEXT) | instid1(VALU_DEP_4)
	v_dual_fmac_f32 v150, 0xbf7ee86f, v122 :: v_dual_add_f32 v63, v71, v63
	v_dual_mul_f32 v71, 0xbf7ee86f, v120 :: v_dual_add_f32 v2, v142, v2
	v_fmac_f32_e32 v115, 0xbeb8f4ab, v104
	v_fma_f32 v55, 0xbf1a4643, v117, -v55
	s_delay_alu instid0(VALU_DEP_4) | instskip(NEXT) | instid1(VALU_DEP_4)
	v_add_f32_e32 v63, v65, v63
	v_fmamk_f32 v64, v109, 0x3dbcf732, v71
	v_dual_mul_f32 v65, 0xbf763a35, v124 :: v_dual_add_f32 v2, v145, v2
	s_delay_alu instid0(VALU_DEP_2) | instskip(NEXT) | instid1(VALU_DEP_2)
	v_dual_add_f32 v0, v89, v0 :: v_dual_add_f32 v63, v64, v63
	v_fmamk_f32 v64, v113, 0xbe8c1d8e, v65
	s_delay_alu instid0(VALU_DEP_1) | instskip(SKIP_1) | instid1(VALU_DEP_2)
	v_dual_add_f32 v2, v146, v2 :: v_dual_add_f32 v63, v64, v63
	v_mul_f32_e32 v64, 0xbf06c442, v133
	v_add_f32_e32 v2, v148, v2
	s_delay_alu instid0(VALU_DEP_2) | instskip(SKIP_1) | instid1(VALU_DEP_3)
	v_dual_add_f32 v52, v54, v63 :: v_dual_fmamk_f32 v53, v121, 0xbf59a7d5, v64
	v_mul_f32_e32 v54, 0xbe3c28d5, v141
	v_add_f32_e32 v2, v150, v2
	s_delay_alu instid0(VALU_DEP_3) | instskip(NEXT) | instid1(VALU_DEP_3)
	v_add_f32_e32 v50, v53, v52
	v_fmamk_f32 v51, v125, 0xbf7ba420, v54
	v_fma_f32 v52, 0x3dbcf732, v121, -v157
	v_fma_f32 v54, 0xbf7ba420, v125, -v54
	s_delay_alu instid0(VALU_DEP_3) | instskip(SKIP_1) | instid1(VALU_DEP_2)
	v_dual_add_f32 v48, v51, v50 :: v_dual_add_f32 v51, v57, v152
	v_add_f32_e32 v57, v57, v115
	v_add_f32_e32 v51, v156, v51
	s_delay_alu instid0(VALU_DEP_2) | instskip(NEXT) | instid1(VALU_DEP_2)
	v_add_f32_e32 v57, v119, v57
	v_add_f32_e32 v51, v159, v51
	s_delay_alu instid0(VALU_DEP_1) | instskip(NEXT) | instid1(VALU_DEP_1)
	v_add_f32_e32 v51, v162, v51
	v_add_f32_e32 v51, v158, v51
	s_delay_alu instid0(VALU_DEP_1) | instskip(SKIP_4) | instid1(VALU_DEP_3)
	v_add_f32_e32 v51, v165, v51
	v_add_f32_e32 v171, v174, v171
	v_fma_f32 v50, 0x3ee437d1, v103, -v144
	v_fmamk_f32 v174, v108, 0x3f65296c, v123
	v_fmac_f32_e32 v123, 0xbf65296c, v108
	v_add_f32_e32 v3, v56, v50
	v_fma_f32 v50, 0xbf1a4643, v105, -v147
	s_delay_alu instid0(VALU_DEP_4) | instskip(SKIP_2) | instid1(VALU_DEP_4)
	v_add_f32_e32 v163, v174, v171
	v_fmamk_f32 v171, v111, 0x3f7ee86f, v127
	v_dual_fmac_f32 v168, 0x3f65296c, v122 :: v_dual_add_f32 v57, v123, v57
	v_add_f32_e32 v3, v50, v3
	v_fma_f32 v50, 0xbf7ba420, v107, -v149
	s_delay_alu instid0(VALU_DEP_4) | instskip(SKIP_1) | instid1(VALU_DEP_3)
	v_add_f32_e32 v163, v171, v163
	v_fmac_f32_e32 v127, 0xbf7ee86f, v111
	v_add_f32_e32 v3, v50, v3
	v_fma_f32 v50, 0xbe8c1d8e, v109, -v151
	s_delay_alu instid0(VALU_DEP_3) | instskip(NEXT) | instid1(VALU_DEP_2)
	v_add_f32_e32 v57, v127, v57
	v_add_f32_e32 v3, v50, v3
	v_fma_f32 v50, 0x3f3d2fb0, v113, -v154
	s_delay_alu instid0(VALU_DEP_1) | instskip(SKIP_1) | instid1(VALU_DEP_1)
	v_add_f32_e32 v3, v50, v3
	v_fma_f32 v50, 0x3f6eb680, v117, -v153
	v_dual_add_f32 v50, v50, v3 :: v_dual_add_f32 v3, v155, v2
	v_fma_f32 v2, 0x3f3d2fb0, v103, -v160
	v_mul_f32_e32 v128, 0xbe8c1d8e, v128
	v_fmac_f32_e32 v170, 0x3eb8f4ab, v126
	s_delay_alu instid0(VALU_DEP_4) | instskip(SKIP_4) | instid1(VALU_DEP_4)
	v_add_f32_e32 v50, v52, v50
	v_fma_f32 v52, 0xbf59a7d5, v125, -v161
	v_add_f32_e32 v53, v56, v2
	v_fmamk_f32 v171, v114, 0x3f763a35, v128
	v_fmac_f32_e32 v128, 0xbf763a35, v114
	v_add_f32_e32 v2, v52, v50
	v_add_f32_e32 v50, v168, v51
	s_delay_alu instid0(VALU_DEP_4) | instskip(SKIP_2) | instid1(VALU_DEP_2)
	v_add_f32_e32 v163, v171, v163
	v_fma_f32 v51, 0x3f6eb680, v103, -v69
	v_dual_fmamk_f32 v62, v118, 0x3f4c4adb, v60 :: v_dual_add_f32 v57, v128, v57
	v_dual_fmac_f32 v60, 0xbf4c4adb, v118 :: v_dual_add_f32 v51, v56, v51
	s_delay_alu instid0(VALU_DEP_2) | instskip(SKIP_1) | instid1(VALU_DEP_1)
	v_add_f32_e32 v62, v62, v163
	v_fma_f32 v56, 0x3f3d2fb0, v105, -v68
	v_dual_add_f32 v62, v73, v62 :: v_dual_add_f32 v51, v56, v51
	v_fma_f32 v56, 0x3ee437d1, v107, -v72
	s_delay_alu instid0(VALU_DEP_1) | instskip(SKIP_1) | instid1(VALU_DEP_1)
	v_add_f32_e32 v51, v56, v51
	v_fma_f32 v56, 0x3dbcf732, v109, -v71
	v_dual_fmac_f32 v70, 0xbf06c442, v122 :: v_dual_add_f32 v51, v56, v51
	v_fma_f32 v56, 0xbe8c1d8e, v113, -v65
	s_delay_alu instid0(VALU_DEP_1) | instskip(SKIP_1) | instid1(VALU_DEP_2)
	v_add_f32_e32 v51, v56, v51
	v_fma_f32 v56, 0x3f6eb680, v125, -v61
	v_add_f32_e32 v51, v55, v51
	v_fma_f32 v55, 0xbf59a7d5, v121, -v64
	s_delay_alu instid0(VALU_DEP_1) | instskip(SKIP_3) | instid1(VALU_DEP_2)
	v_add_f32_e32 v55, v55, v51
	v_add_f32_e32 v49, v58, v62
	v_fma_f32 v58, 0x3dbcf732, v105, -v164
	v_add_f32_e32 v51, v170, v50
	v_add_f32_e32 v52, v58, v53
	v_fma_f32 v53, 0xbf1a4643, v107, -v167
	s_delay_alu instid0(VALU_DEP_1) | instskip(SKIP_1) | instid1(VALU_DEP_1)
	v_add_f32_e32 v52, v53, v52
	v_fma_f32 v53, 0xbf7ba420, v109, -v169
	v_add_f32_e32 v52, v53, v52
	v_fma_f32 v53, 0xbf59a7d5, v113, -v172
	s_delay_alu instid0(VALU_DEP_1) | instskip(SKIP_1) | instid1(VALU_DEP_1)
	v_add_f32_e32 v52, v53, v52
	v_fma_f32 v53, 0xbe8c1d8e, v117, -v166
	v_add_f32_e32 v52, v53, v52
	v_fma_f32 v53, 0x3ee437d1, v121, -v173
	s_delay_alu instid0(VALU_DEP_1) | instskip(NEXT) | instid1(VALU_DEP_1)
	v_dual_add_f32 v52, v53, v52 :: v_dual_add_f32 v53, v60, v57
	v_dual_add_f32 v50, v56, v52 :: v_dual_and_b32 v57, 0xffff, v99
	s_delay_alu instid0(VALU_DEP_2) | instskip(NEXT) | instid1(VALU_DEP_2)
	v_add_f32_e32 v53, v70, v53
	v_dual_add_f32 v52, v54, v55 :: v_dual_lshlrev_b32 v57, 3, v57
	s_delay_alu instid0(VALU_DEP_2)
	v_add_f32_e32 v53, v59, v53
	ds_store_2addr_b64 v57, v[0:1], v[48:49] offset1:1
	ds_store_2addr_b64 v57, v[131:132], v[138:139] offset0:2 offset1:3
	ds_store_2addr_b64 v57, v[134:135], v[95:96] offset0:4 offset1:5
	;; [unrolled: 1-line block ×7, first 2 shown]
	ds_store_b64 v57, v[52:53] offset:128
.LBB0_17:
	s_wait_alu 0xfffe
	s_or_b32 exec_lo, exec_lo, s1
	v_add_nc_u32_e32 v48, 0xa00, v97
	v_add_nc_u32_e32 v49, 0x1600, v97
	global_wb scope:SCOPE_SE
	s_wait_dscnt 0x0
	s_barrier_signal -1
	s_barrier_wait -1
	global_inv scope:SCOPE_SE
	ds_load_2addr_b64 v[0:3], v97 offset1:187
	ds_load_2addr_b64 v[52:55], v48 offset0:54 offset1:241
	ds_load_2addr_b64 v[48:51], v49 offset0:44 offset1:231
	ds_load_b64 v[56:57], v97 offset:8976
	s_and_saveexec_b32 s1, s0
	s_cbranch_execz .LBB0_19
; %bb.18:
	v_add_nc_u32_e32 v58, 0x800, v97
	v_add_nc_u32_e32 v59, 0x1400, v97
	;; [unrolled: 1-line block ×3, first 2 shown]
	ds_load_b64 v[91:92], v97 offset:952
	ds_load_2addr_b64 v[84:87], v58 offset0:50 offset1:237
	ds_load_2addr_b64 v[80:83], v59 offset0:40 offset1:227
	;; [unrolled: 1-line block ×3, first 2 shown]
.LBB0_19:
	s_wait_alu 0xfffe
	s_or_b32 exec_lo, exec_lo, s1
	s_wait_dscnt 0x2
	v_dual_mul_f32 v58, v25, v3 :: v_dual_mul_f32 v59, v27, v53
	v_mul_f32_e32 v25, v25, v2
	v_mul_f32_e32 v27, v27, v52
	global_wb scope:SCOPE_SE
	s_wait_dscnt 0x0
	v_dual_fmac_f32 v58, v24, v2 :: v_dual_fmac_f32 v59, v26, v52
	v_fma_f32 v2, v24, v3, -v25
	v_dual_mul_f32 v24, v23, v49 :: v_dual_mul_f32 v3, v21, v55
	v_mul_f32_e32 v21, v21, v54
	v_fma_f32 v25, v26, v53, -v27
	v_mul_f32_e32 v26, v17, v51
	s_delay_alu instid0(VALU_DEP_4) | instskip(SKIP_2) | instid1(VALU_DEP_3)
	v_dual_mul_f32 v17, v17, v50 :: v_dual_fmac_f32 v24, v22, v48
	v_mul_f32_e32 v23, v23, v48
	s_barrier_signal -1
	v_fmac_f32_e32 v26, v16, v50
	s_delay_alu instid0(VALU_DEP_3)
	v_fma_f32 v16, v16, v51, -v17
	v_fmac_f32_e32 v3, v20, v54
	v_fma_f32 v20, v20, v55, -v21
	v_mul_f32_e32 v21, v19, v57
	v_mul_f32_e32 v19, v19, v56
	s_barrier_wait -1
	global_inv scope:SCOPE_SE
	v_fmac_f32_e32 v21, v18, v56
	v_fma_f32 v18, v18, v57, -v19
	v_fma_f32 v19, v22, v49, -v23
	s_delay_alu instid0(VALU_DEP_2) | instskip(SKIP_4) | instid1(VALU_DEP_3)
	v_add_f32_e32 v22, v2, v18
	v_sub_f32_e32 v2, v2, v18
	v_dual_add_f32 v18, v59, v26 :: v_dual_add_f32 v17, v58, v21
	v_dual_sub_f32 v26, v59, v26 :: v_dual_add_f32 v23, v25, v16
	v_sub_f32_e32 v16, v25, v16
	v_sub_f32_e32 v48, v18, v17
	;; [unrolled: 1-line block ×3, first 2 shown]
	v_add_f32_e32 v25, v3, v24
	v_dual_sub_f32 v3, v24, v3 :: v_dual_add_f32 v24, v23, v22
	s_delay_alu instid0(VALU_DEP_1) | instskip(SKIP_4) | instid1(VALU_DEP_3)
	v_add_f32_e32 v50, v3, v26
	v_sub_f32_e32 v52, v3, v26
	v_dual_sub_f32 v26, v26, v21 :: v_dual_add_f32 v27, v20, v19
	v_dual_sub_f32 v19, v19, v20 :: v_dual_add_f32 v20, v18, v17
	v_sub_f32_e32 v18, v25, v18
	v_dual_sub_f32 v17, v17, v25 :: v_dual_add_f32 v24, v27, v24
	s_delay_alu instid0(VALU_DEP_3) | instskip(NEXT) | instid1(VALU_DEP_4)
	v_add_f32_e32 v51, v19, v16
	v_dual_add_f32 v20, v25, v20 :: v_dual_sub_f32 v49, v23, v22
	v_sub_f32_e32 v22, v22, v27
	v_sub_f32_e32 v23, v27, v23
	s_delay_alu instid0(VALU_DEP_3) | instskip(NEXT) | instid1(VALU_DEP_3)
	v_dual_sub_f32 v3, v21, v3 :: v_dual_add_f32 v0, v0, v20
	v_dual_sub_f32 v53, v19, v16 :: v_dual_mul_f32 v22, 0x3f4a47b2, v22
	s_delay_alu instid0(VALU_DEP_3) | instskip(SKIP_2) | instid1(VALU_DEP_4)
	v_dual_mul_f32 v27, 0x3d64c772, v23 :: v_dual_sub_f32 v16, v16, v2
	v_sub_f32_e32 v19, v2, v19
	v_add_f32_e32 v21, v50, v21
	v_fmamk_f32 v23, v23, 0x3d64c772, v22
	v_mul_f32_e32 v17, 0x3f4a47b2, v17
	v_dual_add_f32 v1, v1, v24 :: v_dual_fmamk_f32 v20, v20, 0xbf955555, v0
	v_mul_f32_e32 v50, 0x3f08b237, v52
	v_fma_f32 v22, 0xbf3bfb3b, v49, -v22
	s_delay_alu instid0(VALU_DEP_4) | instskip(NEXT) | instid1(VALU_DEP_4)
	v_dual_mul_f32 v25, 0x3d64c772, v18 :: v_dual_fmamk_f32 v18, v18, 0x3d64c772, v17
	v_fmamk_f32 v24, v24, 0xbf955555, v1
	v_mul_f32_e32 v52, 0xbf5ff5aa, v26
	v_dual_add_f32 v2, v51, v2 :: v_dual_mul_f32 v51, 0x3f08b237, v53
	s_delay_alu instid0(VALU_DEP_4)
	v_fma_f32 v25, 0x3f3bfb3b, v48, -v25
	v_fma_f32 v27, 0x3f3bfb3b, v49, -v27
	;; [unrolled: 1-line block ×3, first 2 shown]
	v_add_f32_e32 v54, v23, v24
	v_fma_f32 v17, 0xbf3bfb3b, v48, -v17
	v_dual_fmamk_f32 v48, v3, 0xbeae86e6, v50 :: v_dual_add_f32 v23, v25, v20
	v_fma_f32 v50, 0xbf5ff5aa, v16, -v51
	v_add_f32_e32 v25, v27, v24
	s_delay_alu instid0(VALU_DEP_4)
	v_dual_add_f32 v27, v17, v20 :: v_dual_fmac_f32 v26, 0xbee1c552, v21
	v_mul_f32_e32 v53, 0xbf5ff5aa, v16
	v_fmac_f32_e32 v48, 0xbee1c552, v21
	v_fmac_f32_e32 v50, 0xbee1c552, v2
	v_fmamk_f32 v49, v19, 0xbeae86e6, v51
	v_fma_f32 v51, 0x3eae86e6, v3, -v52
	v_fma_f32 v52, 0x3eae86e6, v19, -v53
	v_add_f32_e32 v53, v18, v20
	v_sub_f32_e32 v3, v54, v48
	s_delay_alu instid0(VALU_DEP_4) | instskip(NEXT) | instid1(VALU_DEP_4)
	v_dual_add_f32 v20, v50, v23 :: v_dual_fmac_f32 v51, 0xbee1c552, v21
	v_fmac_f32_e32 v52, 0xbee1c552, v2
	v_dual_fmac_f32 v49, 0xbee1c552, v2 :: v_dual_add_f32 v24, v22, v24
	v_dual_sub_f32 v18, v23, v50 :: v_dual_add_f32 v19, v26, v25
	s_delay_alu instid0(VALU_DEP_3) | instskip(NEXT) | instid1(VALU_DEP_3)
	v_sub_f32_e32 v22, v27, v52
	v_add_f32_e32 v2, v49, v53
	v_add_f32_e32 v16, v52, v27
	v_sub_f32_e32 v17, v24, v51
	v_sub_f32_e32 v21, v25, v26
	v_dual_add_f32 v23, v51, v24 :: v_dual_sub_f32 v24, v53, v49
	v_add_f32_e32 v25, v48, v54
	ds_store_2addr_b64 v101, v[0:1], v[2:3] offset1:17
	ds_store_2addr_b64 v101, v[16:17], v[18:19] offset0:34 offset1:51
	ds_store_2addr_b64 v101, v[20:21], v[22:23] offset0:68 offset1:85
	ds_store_b64 v101, v[24:25] offset:816
	s_and_saveexec_b32 s1, s0
	s_cbranch_execz .LBB0_21
; %bb.20:
	v_dual_mul_f32 v0, v9, v85 :: v_dual_mul_f32 v1, v7, v83
	v_dual_mul_f32 v2, v5, v81 :: v_dual_mul_f32 v3, v11, v87
	;; [unrolled: 1-line block ×3, first 2 shown]
	s_delay_alu instid0(VALU_DEP_2) | instskip(NEXT) | instid1(VALU_DEP_2)
	v_dual_fmac_f32 v1, v6, v82 :: v_dual_fmac_f32 v2, v4, v80
	v_dual_fmac_f32 v3, v10, v86 :: v_dual_fmac_f32 v16, v12, v76
	s_delay_alu instid0(VALU_DEP_3) | instskip(NEXT) | instid1(VALU_DEP_3)
	v_dual_fmac_f32 v0, v8, v84 :: v_dual_fmac_f32 v17, v14, v78
	v_sub_f32_e32 v18, v1, v2
	v_mul_f32_e32 v11, v11, v86
	s_delay_alu instid0(VALU_DEP_4)
	v_dual_sub_f32 v19, v3, v16 :: v_dual_add_f32 v16, v16, v3
	v_mul_f32_e32 v5, v5, v80
	v_dual_mul_f32 v7, v7, v82 :: v_dual_add_f32 v2, v2, v1
	v_dual_mul_f32 v15, v15, v78 :: v_dual_sub_f32 v20, v0, v17
	v_fma_f32 v10, v10, v87, -v11
	v_add_f32_e32 v11, v18, v19
	v_fma_f32 v4, v4, v81, -v5
	v_fma_f32 v5, v6, v83, -v7
	;; [unrolled: 1-line block ×3, first 2 shown]
	v_add_f32_e32 v17, v17, v0
	v_add_f32_e32 v7, v11, v20
	s_delay_alu instid0(VALU_DEP_4) | instskip(SKIP_2) | instid1(VALU_DEP_2)
	v_dual_add_f32 v11, v4, v5 :: v_dual_sub_f32 v4, v5, v4
	v_mul_f32_e32 v9, v9, v84
	v_mul_f32_e32 v13, v13, v76
	v_fma_f32 v8, v8, v85, -v9
	s_delay_alu instid0(VALU_DEP_2) | instskip(SKIP_4) | instid1(VALU_DEP_4)
	v_fma_f32 v9, v12, v77, -v13
	v_sub_f32_e32 v21, v18, v19
	v_sub_f32_e32 v15, v20, v18
	v_sub_f32_e32 v19, v19, v20
	v_add_f32_e32 v12, v14, v8
	v_dual_add_f32 v6, v9, v10 :: v_dual_mul_f32 v21, 0x3f08b237, v21
	v_dual_sub_f32 v5, v10, v9 :: v_dual_sub_f32 v8, v8, v14
	s_delay_alu instid0(VALU_DEP_3) | instskip(NEXT) | instid1(VALU_DEP_3)
	v_sub_f32_e32 v22, v12, v11
	v_add_f32_e32 v18, v6, v12
	v_sub_f32_e32 v0, v11, v6
	s_delay_alu instid0(VALU_DEP_4) | instskip(NEXT) | instid1(VALU_DEP_3)
	v_dual_sub_f32 v10, v4, v5 :: v_dual_fmamk_f32 v13, v15, 0xbeae86e6, v21
	v_dual_sub_f32 v25, v8, v4 :: v_dual_add_f32 v18, v11, v18
	v_mul_f32_e32 v11, 0x3f4a47b2, v22
	s_delay_alu instid0(VALU_DEP_4) | instskip(NEXT) | instid1(VALU_DEP_4)
	v_mul_f32_e32 v22, 0x3d64c772, v0
	v_mul_f32_e32 v10, 0x3f08b237, v10
	v_add_f32_e32 v4, v4, v5
	s_delay_alu instid0(VALU_DEP_4) | instskip(SKIP_1) | instid1(VALU_DEP_1)
	v_fmamk_f32 v23, v0, 0x3d64c772, v11
	v_dual_add_f32 v3, v16, v17 :: v_dual_sub_f32 v0, v17, v2
	v_add_f32_e32 v3, v2, v3
	s_delay_alu instid0(VALU_DEP_2) | instskip(SKIP_1) | instid1(VALU_DEP_3)
	v_mul_f32_e32 v9, 0x3f4a47b2, v0
	v_sub_f32_e32 v2, v2, v16
	v_dual_add_f32 v0, v91, v3 :: v_dual_add_f32 v1, v92, v18
	s_delay_alu instid0(VALU_DEP_1) | instskip(NEXT) | instid1(VALU_DEP_2)
	v_fmamk_f32 v24, v3, 0xbf955555, v0
	v_dual_fmamk_f32 v18, v18, 0xbf955555, v1 :: v_dual_sub_f32 v5, v5, v8
	v_dual_add_f32 v4, v4, v8 :: v_dual_fmac_f32 v13, 0xbee1c552, v7
	s_delay_alu instid0(VALU_DEP_2) | instskip(NEXT) | instid1(VALU_DEP_3)
	v_add_f32_e32 v14, v23, v18
	v_mul_f32_e32 v8, 0xbf5ff5aa, v5
	v_mul_f32_e32 v26, 0xbf5ff5aa, v19
	v_dual_fmamk_f32 v23, v2, 0x3d64c772, v9 :: v_dual_mul_f32 v2, 0x3d64c772, v2
	s_delay_alu instid0(VALU_DEP_2)
	v_fma_f32 v15, 0x3eae86e6, v15, -v26
	v_sub_f32_e32 v6, v6, v12
	v_sub_f32_e32 v12, v16, v17
	v_fma_f32 v16, 0x3eae86e6, v25, -v8
	v_fma_f32 v8, 0xbf5ff5aa, v19, -v21
	v_fmac_f32_e32 v15, 0xbee1c552, v7
	v_fma_f32 v11, 0xbf3bfb3b, v6, -v11
	v_fma_f32 v6, 0x3f3bfb3b, v6, -v22
	v_dual_add_f32 v3, v13, v14 :: v_dual_add_f32 v20, v23, v24
	v_fmamk_f32 v23, v25, 0xbeae86e6, v10
	v_fma_f32 v9, 0xbf3bfb3b, v12, -v9
	s_delay_alu instid0(VALU_DEP_4) | instskip(SKIP_4) | instid1(VALU_DEP_4)
	v_add_f32_e32 v6, v6, v18
	v_add_f32_e32 v11, v11, v18
	v_fma_f32 v2, 0x3f3bfb3b, v12, -v2
	v_fmac_f32_e32 v8, 0xbee1c552, v7
	v_fma_f32 v19, 0xbf5ff5aa, v5, -v10
	v_dual_fmac_f32 v16, 0xbee1c552, v4 :: v_dual_add_f32 v5, v15, v11
	s_delay_alu instid0(VALU_DEP_4) | instskip(NEXT) | instid1(VALU_DEP_4)
	v_add_f32_e32 v2, v2, v24
	v_sub_f32_e32 v7, v6, v8
	s_delay_alu instid0(VALU_DEP_4)
	v_fmac_f32_e32 v19, 0xbee1c552, v4
	v_add_f32_e32 v17, v9, v24
	v_add_f32_e32 v9, v8, v6
	v_mul_u32_u24_e32 v6, 0x77, v102
	v_sub_f32_e32 v13, v14, v13
	v_sub_f32_e32 v11, v11, v15
	s_delay_alu instid0(VALU_DEP_3) | instskip(SKIP_4) | instid1(VALU_DEP_3)
	v_add_lshl_u32 v14, v6, v100, 3
	v_add_f32_e32 v6, v19, v2
	v_dual_add_f32 v10, v16, v17 :: v_dual_fmac_f32 v23, 0xbee1c552, v4
	v_sub_f32_e32 v8, v2, v19
	v_sub_f32_e32 v4, v17, v16
	v_add_f32_e32 v12, v23, v20
	v_sub_f32_e32 v2, v20, v23
	ds_store_2addr_b64 v14, v[0:1], v[12:13] offset1:17
	ds_store_2addr_b64 v14, v[10:11], v[8:9] offset0:34 offset1:51
	ds_store_2addr_b64 v14, v[6:7], v[4:5] offset0:68 offset1:85
	ds_store_b64 v14, v[2:3] offset:816
.LBB0_21:
	s_wait_alu 0xfffe
	s_or_b32 exec_lo, exec_lo, s1
	global_wb scope:SCOPE_SE
	s_wait_dscnt 0x0
	s_barrier_signal -1
	s_barrier_wait -1
	global_inv scope:SCOPE_SE
	ds_load_2addr_b64 v[4:7], v97 offset0:119 offset1:238
	v_add_nc_u32_e32 v2, 0x1000, v97
	v_add_nc_u32_e32 v0, 0x2000, v97
	s_wait_dscnt 0x0
	v_mul_f32_e32 v26, v45, v5
	v_mul_f32_e32 v27, v45, v4
	;; [unrolled: 1-line block ×4, first 2 shown]
	s_delay_alu instid0(VALU_DEP_4)
	v_dual_fmac_f32 v26, v44, v4 :: v_dual_add_nc_u32 v3, 0x800, v97
	ds_load_2addr_b64 v[8:11], v3 offset0:101 offset1:220
	ds_load_2addr_b64 v[12:15], v2 offset0:83 offset1:202
	ds_load_b64 v[24:25], v97
	v_fmac_f32_e32 v45, v46, v6
	ds_load_2addr_b64 v[20:23], v0 offset0:47 offset1:166
	v_fma_f32 v4, v44, v5, -v27
	v_fma_f32 v5, v46, v7, -v47
	s_wait_dscnt 0x3
	v_mul_f32_e32 v6, v41, v9
	v_add_nc_u32_e32 v1, 0x1800, v97
	v_mul_f32_e32 v7, v41, v8
	s_delay_alu instid0(VALU_DEP_3)
	v_dual_mul_f32 v27, v43, v11 :: v_dual_fmac_f32 v6, v40, v8
	ds_load_2addr_b64 v[16:19], v1 offset0:65 offset1:184
	s_wait_dscnt 0x2
	v_add_f32_e32 v8, v24, v26
	v_mul_f32_e32 v41, v43, v10
	v_mul_f32_e32 v43, v33, v13
	v_fma_f32 v9, v40, v9, -v7
	s_delay_alu instid0(VALU_DEP_4) | instskip(NEXT) | instid1(VALU_DEP_3)
	v_dual_mul_f32 v7, v33, v12 :: v_dual_add_f32 v8, v8, v45
	v_fmac_f32_e32 v43, v32, v12
	v_dual_add_f32 v12, v25, v4 :: v_dual_fmac_f32 v27, v42, v10
	v_fma_f32 v10, v42, v11, -v41
	v_mul_f32_e32 v11, v35, v15
	v_fma_f32 v13, v32, v13, -v7
	s_delay_alu instid0(VALU_DEP_4) | instskip(NEXT) | instid1(VALU_DEP_3)
	v_dual_mul_f32 v7, v35, v14 :: v_dual_add_f32 v12, v12, v5
	v_fmac_f32_e32 v11, v34, v14
	s_delay_alu instid0(VALU_DEP_2) | instskip(SKIP_3) | instid1(VALU_DEP_2)
	v_fma_f32 v15, v34, v15, -v7
	s_wait_dscnt 0x0
	v_dual_mul_f32 v14, v29, v17 :: v_dual_add_f32 v7, v8, v6
	v_dual_add_f32 v8, v12, v9 :: v_dual_mul_f32 v29, v29, v16
	v_fmac_f32_e32 v14, v28, v16
	v_mul_f32_e32 v16, v31, v19
	s_delay_alu instid0(VALU_DEP_3) | instskip(NEXT) | instid1(VALU_DEP_4)
	v_add_f32_e32 v8, v8, v10
	v_fma_f32 v12, v28, v17, -v29
	v_dual_mul_f32 v28, v37, v21 :: v_dual_mul_f32 v17, v31, v18
	s_delay_alu instid0(VALU_DEP_4) | instskip(NEXT) | instid1(VALU_DEP_4)
	v_fmac_f32_e32 v16, v30, v18
	v_add_f32_e32 v8, v8, v13
	v_mul_f32_e32 v18, v39, v22
	s_delay_alu instid0(VALU_DEP_4) | instskip(SKIP_1) | instid1(VALU_DEP_4)
	v_fmac_f32_e32 v28, v36, v20
	v_dual_mul_f32 v20, v37, v20 :: v_dual_add_f32 v7, v7, v27
	v_add_f32_e32 v8, v8, v15
	v_fma_f32 v17, v30, v19, -v17
	v_fma_f32 v18, v38, v23, -v18
	v_mul_f32_e32 v19, v39, v23
	s_delay_alu instid0(VALU_DEP_4) | instskip(SKIP_1) | instid1(VALU_DEP_4)
	v_dual_add_f32 v7, v7, v43 :: v_dual_add_f32 v8, v8, v12
	v_fma_f32 v20, v36, v21, -v20
	v_sub_f32_e32 v21, v4, v18
	s_delay_alu instid0(VALU_DEP_3) | instskip(NEXT) | instid1(VALU_DEP_4)
	v_dual_add_f32 v4, v4, v18 :: v_dual_add_f32 v7, v7, v11
	v_dual_add_f32 v8, v8, v17 :: v_dual_fmac_f32 v19, v38, v22
	s_delay_alu instid0(VALU_DEP_4) | instskip(NEXT) | instid1(VALU_DEP_3)
	v_sub_f32_e32 v44, v5, v20
	v_dual_mul_f32 v32, 0x3ed4b147, v4 :: v_dual_add_f32 v7, v7, v14
	s_delay_alu instid0(VALU_DEP_3) | instskip(NEXT) | instid1(VALU_DEP_4)
	v_add_f32_e32 v8, v8, v20
	v_dual_add_f32 v22, v26, v19 :: v_dual_mul_f32 v23, 0xbf0a6770, v21
	s_delay_alu instid0(VALU_DEP_3) | instskip(NEXT) | instid1(VALU_DEP_3)
	v_dual_sub_f32 v26, v26, v19 :: v_dual_add_f32 v7, v7, v16
	v_dual_mul_f32 v29, 0x3f575c64, v4 :: v_dual_add_f32 v8, v8, v18
	s_delay_alu instid0(VALU_DEP_3) | instskip(NEXT) | instid1(VALU_DEP_3)
	v_fmamk_f32 v30, v22, 0x3f575c64, v23
	v_dual_mul_f32 v18, 0xbf68dda4, v21 :: v_dual_add_f32 v7, v7, v28
	v_fma_f32 v23, 0x3f575c64, v22, -v23
	v_mul_f32_e32 v38, 0xbf4178ce, v21
	s_delay_alu instid0(VALU_DEP_3) | instskip(NEXT) | instid1(VALU_DEP_4)
	v_dual_add_f32 v30, v24, v30 :: v_dual_fmamk_f32 v31, v22, 0x3ed4b147, v18
	v_add_f32_e32 v7, v7, v19
	v_fmamk_f32 v19, v26, 0x3f0a6770, v29
	v_dual_add_f32 v23, v24, v23 :: v_dual_fmamk_f32 v34, v26, 0x3f68dda4, v32
	v_fmac_f32_e32 v32, 0xbf68dda4, v26
	v_fmac_f32_e32 v29, 0xbf0a6770, v26
	s_delay_alu instid0(VALU_DEP_4) | instskip(SKIP_4) | instid1(VALU_DEP_4)
	v_add_f32_e32 v19, v25, v19
	v_fma_f32 v18, 0x3ed4b147, v22, -v18
	v_mul_f32_e32 v33, 0xbf7d64f0, v21
	v_dual_mul_f32 v39, 0xbf27a4f4, v4 :: v_dual_fmamk_f32 v40, v22, 0xbf27a4f4, v38
	v_fma_f32 v38, 0xbf27a4f4, v22, -v38
	v_dual_mul_f32 v35, 0xbe11bafb, v4 :: v_dual_add_f32 v18, v24, v18
	s_delay_alu instid0(VALU_DEP_4) | instskip(SKIP_1) | instid1(VALU_DEP_4)
	v_fmamk_f32 v36, v22, 0xbe11bafb, v33
	v_add_f32_e32 v32, v25, v32
	v_dual_add_f32 v38, v24, v38 :: v_dual_add_f32 v29, v25, v29
	s_delay_alu instid0(VALU_DEP_3) | instskip(SKIP_3) | instid1(VALU_DEP_4)
	v_dual_fmamk_f32 v37, v26, 0x3f7d64f0, v35 :: v_dual_add_f32 v36, v24, v36
	v_fma_f32 v33, 0xbe11bafb, v22, -v33
	v_mul_f32_e32 v21, 0xbe903f40, v21
	v_fmamk_f32 v41, v26, 0x3f4178ce, v39
	v_add_f32_e32 v37, v25, v37
	v_fmac_f32_e32 v39, 0xbf4178ce, v26
	v_dual_add_f32 v33, v24, v33 :: v_dual_mul_f32 v4, 0xbf75a155, v4
	v_dual_fmamk_f32 v42, v22, 0xbf75a155, v21 :: v_dual_add_f32 v5, v5, v20
	v_dual_fmac_f32 v35, 0xbf7d64f0, v26 :: v_dual_add_f32 v40, v24, v40
	s_delay_alu instid0(VALU_DEP_3) | instskip(NEXT) | instid1(VALU_DEP_3)
	v_dual_add_f32 v41, v25, v41 :: v_dual_fmamk_f32 v46, v26, 0x3e903f40, v4
	v_add_f32_e32 v42, v24, v42
	v_fma_f32 v21, 0xbf75a155, v22, -v21
	v_add_f32_e32 v20, v45, v28
	v_dual_add_f32 v39, v25, v39 :: v_dual_mul_f32 v22, 0xbf68dda4, v44
	v_fmac_f32_e32 v4, 0xbe903f40, v26
	s_delay_alu instid0(VALU_DEP_4) | instskip(SKIP_3) | instid1(VALU_DEP_3)
	v_dual_sub_f32 v26, v45, v28 :: v_dual_add_f32 v21, v24, v21
	v_dual_mul_f32 v28, 0x3ed4b147, v5 :: v_dual_add_f32 v45, v25, v46
	v_dual_add_f32 v31, v24, v31 :: v_dual_add_f32 v34, v25, v34
	v_fmamk_f32 v46, v20, 0x3ed4b147, v22
	v_fmamk_f32 v24, v26, 0x3f68dda4, v28
	v_fma_f32 v22, 0x3ed4b147, v20, -v22
	v_dual_fmac_f32 v28, 0xbf68dda4, v26 :: v_dual_add_f32 v35, v25, v35
	s_delay_alu instid0(VALU_DEP_4) | instskip(SKIP_1) | instid1(VALU_DEP_3)
	v_add_f32_e32 v30, v46, v30
	v_mul_f32_e32 v46, 0xbf27a4f4, v5
	v_dual_add_f32 v22, v22, v23 :: v_dual_add_f32 v23, v28, v29
	v_dual_add_f32 v4, v25, v4 :: v_dual_add_f32 v19, v24, v19
	v_mul_f32_e32 v25, 0xbf4178ce, v44
	s_delay_alu instid0(VALU_DEP_4) | instskip(SKIP_1) | instid1(VALU_DEP_3)
	v_fmamk_f32 v29, v26, 0x3f4178ce, v46
	v_fmac_f32_e32 v46, 0xbf4178ce, v26
	v_fmamk_f32 v24, v20, 0xbf27a4f4, v25
	v_fma_f32 v25, 0xbf27a4f4, v20, -v25
	v_mul_f32_e32 v47, 0xbf75a155, v5
	v_dual_add_f32 v29, v29, v34 :: v_dual_mul_f32 v34, 0x3f7d64f0, v44
	s_delay_alu instid0(VALU_DEP_4) | instskip(NEXT) | instid1(VALU_DEP_4)
	v_add_f32_e32 v24, v24, v31
	v_add_f32_e32 v18, v25, v18
	v_mul_f32_e32 v28, 0x3e903f40, v44
	v_add_f32_e32 v25, v46, v32
	v_fmamk_f32 v32, v26, 0xbe903f40, v47
	v_fmac_f32_e32 v47, 0x3e903f40, v26
	v_mul_f32_e32 v44, 0x3f0a6770, v44
	v_fmamk_f32 v31, v20, 0xbf75a155, v28
	v_fma_f32 v28, 0xbf75a155, v20, -v28
	s_delay_alu instid0(VALU_DEP_4) | instskip(NEXT) | instid1(VALU_DEP_3)
	v_add_f32_e32 v35, v47, v35
	v_dual_add_f32 v31, v31, v36 :: v_dual_mul_f32 v36, 0xbe11bafb, v5
	s_delay_alu instid0(VALU_DEP_3) | instskip(SKIP_1) | instid1(VALU_DEP_3)
	v_add_f32_e32 v28, v28, v33
	v_mul_f32_e32 v5, 0x3f575c64, v5
	v_fmamk_f32 v33, v26, 0xbf7d64f0, v36
	s_delay_alu instid0(VALU_DEP_1) | instskip(SKIP_4) | instid1(VALU_DEP_3)
	v_add_f32_e32 v33, v33, v41
	v_dual_add_f32 v32, v32, v37 :: v_dual_add_f32 v41, v6, v16
	v_fmamk_f32 v37, v20, 0xbe11bafb, v34
	v_fmac_f32_e32 v36, 0x3f7d64f0, v26
	v_sub_f32_e32 v6, v6, v16
	v_dual_add_f32 v37, v37, v40 :: v_dual_fmamk_f32 v40, v20, 0x3f575c64, v44
	s_delay_alu instid0(VALU_DEP_3) | instskip(NEXT) | instid1(VALU_DEP_2)
	v_add_f32_e32 v36, v36, v39
	v_add_f32_e32 v39, v40, v42
	v_fma_f32 v34, 0xbe11bafb, v20, -v34
	v_fmamk_f32 v40, v26, 0xbf0a6770, v5
	v_fmac_f32_e32 v5, 0x3f0a6770, v26
	s_delay_alu instid0(VALU_DEP_3) | instskip(SKIP_4) | instid1(VALU_DEP_4)
	v_add_f32_e32 v34, v34, v38
	v_sub_f32_e32 v38, v9, v17
	v_add_f32_e32 v9, v9, v17
	v_fma_f32 v17, 0x3f575c64, v20, -v44
	v_add_f32_e32 v4, v5, v4
	v_mul_f32_e32 v42, 0xbf7d64f0, v38
	s_delay_alu instid0(VALU_DEP_4) | instskip(NEXT) | instid1(VALU_DEP_4)
	v_mul_f32_e32 v20, 0xbe11bafb, v9
	v_add_f32_e32 v17, v17, v21
	v_mul_f32_e32 v21, 0x3e903f40, v38
	s_delay_alu instid0(VALU_DEP_4) | instskip(NEXT) | instid1(VALU_DEP_1)
	v_fmamk_f32 v16, v41, 0xbe11bafb, v42
	v_dual_add_f32 v5, v16, v30 :: v_dual_fmamk_f32 v16, v6, 0x3f7d64f0, v20
	v_add_f32_e32 v26, v40, v45
	v_fmac_f32_e32 v20, 0xbf7d64f0, v6
	s_delay_alu instid0(VALU_DEP_3) | instskip(SKIP_1) | instid1(VALU_DEP_3)
	v_dual_add_f32 v16, v16, v19 :: v_dual_fmamk_f32 v19, v41, 0xbf75a155, v21
	v_mul_f32_e32 v40, 0xbf75a155, v9
	v_add_f32_e32 v20, v20, v23
	v_fma_f32 v21, 0xbf75a155, v41, -v21
	s_delay_alu instid0(VALU_DEP_4) | instskip(SKIP_3) | instid1(VALU_DEP_3)
	v_add_f32_e32 v19, v19, v24
	v_fma_f32 v30, 0xbe11bafb, v41, -v42
	v_fmamk_f32 v23, v6, 0xbe903f40, v40
	v_mul_f32_e32 v42, 0x3f575c64, v9
	v_add_f32_e32 v22, v30, v22
	s_delay_alu instid0(VALU_DEP_3) | instskip(SKIP_3) | instid1(VALU_DEP_4)
	v_dual_mul_f32 v30, 0x3f68dda4, v38 :: v_dual_add_f32 v23, v23, v29
	v_mul_f32_e32 v29, 0x3ed4b147, v9
	v_fmac_f32_e32 v40, 0x3e903f40, v6
	v_mul_f32_e32 v9, 0xbf27a4f4, v9
	v_fmamk_f32 v24, v41, 0x3ed4b147, v30
	s_delay_alu instid0(VALU_DEP_3) | instskip(NEXT) | instid1(VALU_DEP_2)
	v_dual_add_f32 v18, v21, v18 :: v_dual_add_f32 v21, v40, v25
	v_dual_mul_f32 v25, 0xbf0a6770, v38 :: v_dual_add_f32 v24, v24, v31
	v_fmamk_f32 v31, v6, 0xbf68dda4, v29
	v_fmac_f32_e32 v29, 0x3f68dda4, v6
	s_delay_alu instid0(VALU_DEP_3) | instskip(SKIP_1) | instid1(VALU_DEP_4)
	v_fmamk_f32 v40, v41, 0x3f575c64, v25
	v_fma_f32 v25, 0x3f575c64, v41, -v25
	v_add_f32_e32 v31, v31, v32
	s_delay_alu instid0(VALU_DEP_4) | instskip(SKIP_2) | instid1(VALU_DEP_3)
	v_dual_add_f32 v29, v29, v35 :: v_dual_fmamk_f32 v32, v6, 0x3f0a6770, v42
	v_mul_f32_e32 v35, 0xbf4178ce, v38
	v_fmac_f32_e32 v42, 0xbf0a6770, v6
	v_dual_add_f32 v25, v25, v34 :: v_dual_add_f32 v32, v32, v33
	s_delay_alu instid0(VALU_DEP_2) | instskip(SKIP_2) | instid1(VALU_DEP_3)
	v_dual_fmamk_f32 v33, v41, 0xbf27a4f4, v35 :: v_dual_add_f32 v34, v42, v36
	v_fma_f32 v35, 0xbf27a4f4, v41, -v35
	v_sub_f32_e32 v36, v10, v12
	v_dual_add_f32 v10, v10, v12 :: v_dual_add_f32 v33, v33, v39
	s_delay_alu instid0(VALU_DEP_3) | instskip(SKIP_1) | instid1(VALU_DEP_4)
	v_add_f32_e32 v17, v35, v17
	v_fma_f32 v30, 0x3ed4b147, v41, -v30
	v_mul_f32_e32 v12, 0xbf4178ce, v36
	s_delay_alu instid0(VALU_DEP_2) | instskip(SKIP_2) | instid1(VALU_DEP_2)
	v_add_f32_e32 v28, v30, v28
	v_dual_add_f32 v30, v40, v37 :: v_dual_fmamk_f32 v37, v6, 0x3f4178ce, v9
	v_fmac_f32_e32 v9, 0xbf4178ce, v6
	v_add_f32_e32 v26, v37, v26
	v_add_f32_e32 v37, v27, v14
	v_sub_f32_e32 v6, v27, v14
	v_mul_f32_e32 v14, 0xbf27a4f4, v10
	v_add_f32_e32 v4, v9, v4
	v_mul_f32_e32 v9, 0x3f7d64f0, v36
	v_fmamk_f32 v27, v37, 0xbf27a4f4, v12
	v_fma_f32 v12, 0xbf27a4f4, v37, -v12
	v_fmamk_f32 v35, v6, 0x3f4178ce, v14
	s_delay_alu instid0(VALU_DEP_3) | instskip(NEXT) | instid1(VALU_DEP_2)
	v_dual_fmac_f32 v14, 0xbf4178ce, v6 :: v_dual_add_f32 v5, v27, v5
	v_dual_fmamk_f32 v27, v37, 0xbe11bafb, v9 :: v_dual_add_f32 v16, v35, v16
	v_mul_f32_e32 v35, 0xbe11bafb, v10
	v_add_f32_e32 v12, v12, v22
	v_fma_f32 v9, 0xbe11bafb, v37, -v9
	s_delay_alu instid0(VALU_DEP_3) | instskip(SKIP_3) | instid1(VALU_DEP_3)
	v_dual_add_f32 v19, v27, v19 :: v_dual_fmamk_f32 v22, v6, 0xbf7d64f0, v35
	v_fmac_f32_e32 v35, 0x3f7d64f0, v6
	v_dual_mul_f32 v27, 0x3f575c64, v10 :: v_dual_add_f32 v14, v14, v20
	v_mul_f32_e32 v20, 0xbf0a6770, v36
	v_dual_add_f32 v22, v22, v23 :: v_dual_add_f32 v21, v35, v21
	s_delay_alu instid0(VALU_DEP_2) | instskip(NEXT) | instid1(VALU_DEP_1)
	v_fmamk_f32 v38, v37, 0x3f575c64, v20
	v_add_f32_e32 v23, v38, v24
	v_mul_f32_e32 v24, 0xbe903f40, v36
	s_delay_alu instid0(VALU_DEP_1) | instskip(SKIP_2) | instid1(VALU_DEP_2)
	v_fmamk_f32 v35, v37, 0xbf75a155, v24
	v_dual_add_f32 v18, v9, v18 :: v_dual_fmamk_f32 v9, v6, 0x3f0a6770, v27
	v_fmac_f32_e32 v27, 0xbf0a6770, v6
	v_add_f32_e32 v31, v9, v31
	v_mul_f32_e32 v9, 0xbf75a155, v10
	s_delay_alu instid0(VALU_DEP_3) | instskip(NEXT) | instid1(VALU_DEP_2)
	v_dual_add_f32 v27, v27, v29 :: v_dual_mul_f32 v10, 0x3ed4b147, v10
	v_dual_add_f32 v30, v35, v30 :: v_dual_fmamk_f32 v29, v6, 0x3e903f40, v9
	v_fmac_f32_e32 v9, 0xbe903f40, v6
	v_fma_f32 v24, 0xbf75a155, v37, -v24
	s_delay_alu instid0(VALU_DEP_1) | instskip(NEXT) | instid1(VALU_DEP_3)
	v_dual_add_f32 v29, v29, v32 :: v_dual_add_f32 v24, v24, v25
	v_add_f32_e32 v25, v9, v34
	v_fma_f32 v20, 0x3f575c64, v37, -v20
	v_fmamk_f32 v9, v6, 0xbf68dda4, v10
	v_fmac_f32_e32 v10, 0x3f68dda4, v6
	v_sub_f32_e32 v6, v43, v11
	s_delay_alu instid0(VALU_DEP_4) | instskip(SKIP_1) | instid1(VALU_DEP_1)
	v_add_f32_e32 v20, v20, v28
	v_mul_f32_e32 v28, 0x3f68dda4, v36
	v_fmamk_f32 v35, v37, 0x3ed4b147, v28
	s_delay_alu instid0(VALU_DEP_1) | instskip(SKIP_2) | instid1(VALU_DEP_3)
	v_dual_add_f32 v32, v35, v33 :: v_dual_sub_f32 v33, v13, v15
	v_add_f32_e32 v34, v13, v15
	v_add_f32_e32 v35, v43, v11
	v_dual_mul_f32 v13, 0xbe903f40, v33 :: v_dual_add_f32 v26, v9, v26
	s_delay_alu instid0(VALU_DEP_3) | instskip(NEXT) | instid1(VALU_DEP_2)
	v_mul_f32_e32 v15, 0xbf75a155, v34
	v_fmamk_f32 v9, v35, 0xbf75a155, v13
	s_delay_alu instid0(VALU_DEP_1) | instskip(SKIP_2) | instid1(VALU_DEP_2)
	v_add_f32_e32 v9, v9, v5
	v_fma_f32 v28, 0x3ed4b147, v37, -v28
	v_fma_f32 v5, 0xbf75a155, v35, -v13
	v_dual_mul_f32 v37, 0x3ed4b147, v34 :: v_dual_add_f32 v28, v28, v17
	v_mul_f32_e32 v17, 0x3f0a6770, v33
	s_delay_alu instid0(VALU_DEP_3) | instskip(SKIP_1) | instid1(VALU_DEP_3)
	v_add_f32_e32 v11, v5, v12
	v_mul_f32_e32 v5, 0xbf4178ce, v33
	v_fmamk_f32 v13, v35, 0x3f575c64, v17
	s_delay_alu instid0(VALU_DEP_1) | instskip(SKIP_3) | instid1(VALU_DEP_2)
	v_dual_add_f32 v13, v13, v19 :: v_dual_add_f32 v4, v10, v4
	v_fmamk_f32 v10, v6, 0x3e903f40, v15
	v_fmac_f32_e32 v15, 0xbe903f40, v6
	v_mul_f32_e32 v36, 0xbf27a4f4, v34
	v_add_f32_e32 v12, v15, v14
	v_fma_f32 v15, 0x3f575c64, v35, -v17
	v_fmamk_f32 v17, v35, 0xbf27a4f4, v5
	v_fma_f32 v5, 0xbf27a4f4, v35, -v5
	s_delay_alu instid0(VALU_DEP_3) | instskip(NEXT) | instid1(VALU_DEP_3)
	v_dual_add_f32 v15, v15, v18 :: v_dual_add_f32 v10, v10, v16
	v_dual_mul_f32 v16, 0x3f575c64, v34 :: v_dual_add_f32 v17, v17, v23
	v_fmamk_f32 v18, v6, 0x3f4178ce, v36
	s_delay_alu instid0(VALU_DEP_4) | instskip(NEXT) | instid1(VALU_DEP_3)
	v_dual_fmac_f32 v36, 0xbf4178ce, v6 :: v_dual_add_f32 v19, v5, v20
	v_fmamk_f32 v14, v6, 0xbf0a6770, v16
	v_fmac_f32_e32 v16, 0x3f0a6770, v6
	s_delay_alu instid0(VALU_DEP_3) | instskip(NEXT) | instid1(VALU_DEP_3)
	v_dual_fmamk_f32 v5, v6, 0xbf68dda4, v37 :: v_dual_add_f32 v20, v36, v27
	v_dual_mul_f32 v27, 0xbf7d64f0, v33 :: v_dual_add_f32 v14, v14, v22
	s_delay_alu instid0(VALU_DEP_3) | instskip(SKIP_2) | instid1(VALU_DEP_2)
	v_add_f32_e32 v16, v16, v21
	v_mul_f32_e32 v21, 0x3f68dda4, v33
	v_fmac_f32_e32 v37, 0x3f68dda4, v6
	v_fmamk_f32 v22, v35, 0x3ed4b147, v21
	v_fma_f32 v23, 0x3ed4b147, v35, -v21
	s_delay_alu instid0(VALU_DEP_2) | instskip(SKIP_2) | instid1(VALU_DEP_4)
	v_dual_add_f32 v21, v22, v30 :: v_dual_add_f32 v22, v5, v29
	v_dual_mul_f32 v30, 0xbe11bafb, v34 :: v_dual_fmamk_f32 v5, v35, 0xbe11bafb, v27
	v_fma_f32 v27, 0xbe11bafb, v35, -v27
	v_dual_add_f32 v23, v23, v24 :: v_dual_add_f32 v24, v37, v25
	s_delay_alu instid0(VALU_DEP_3) | instskip(NEXT) | instid1(VALU_DEP_3)
	v_fmamk_f32 v29, v6, 0x3f7d64f0, v30
	v_dual_fmac_f32 v30, 0xbf7d64f0, v6 :: v_dual_add_f32 v27, v27, v28
	v_dual_add_f32 v18, v18, v31 :: v_dual_add_f32 v25, v5, v32
	v_add_nc_u32_e32 v6, 0x400, v97
	s_delay_alu instid0(VALU_DEP_3)
	v_dual_add_f32 v28, v30, v4 :: v_dual_add_nc_u32 v5, 0x1400, v97
	v_add_nc_u32_e32 v4, 0x1c00, v97
	v_dual_add_f32 v26, v29, v26 :: v_dual_add_nc_u32 v29, 0xc00, v97
	ds_store_b64 v97, v[7:8]
	ds_store_b64 v97, v[9:10] offset:952
	ds_store_2addr_b64 v6, v[13:14], v[17:18] offset0:110 offset1:229
	ds_store_2addr_b64 v29, v[21:22], v[25:26] offset0:92 offset1:211
	;; [unrolled: 1-line block ×4, first 2 shown]
	ds_store_b64 v97, v[11:12] offset:9520
	global_wb scope:SCOPE_SE
	s_wait_dscnt 0x0
	s_barrier_signal -1
	s_barrier_wait -1
	global_inv scope:SCOPE_SE
	s_and_b32 exec_lo, exec_lo, vcc_lo
	s_cbranch_execz .LBB0_23
; %bb.22:
	global_load_b64 v[7:8], v97, s[8:9]
	ds_load_b64 v[9:10], v97
	v_mad_co_u64_u32 v[13:14], null, s4, v98, 0
	s_mov_b32 s0, 0xd336f476
	s_mov_b32 s1, 0x3f490868
	s_mul_u64 s[2:3], s[4:5], 0x268
	s_wait_loadcnt_dscnt 0x0
	v_mul_f32_e32 v11, v10, v8
	v_mul_f32_e32 v8, v9, v8
	s_delay_alu instid0(VALU_DEP_2) | instskip(NEXT) | instid1(VALU_DEP_2)
	v_fmac_f32_e32 v11, v9, v7
	v_fma_f32 v9, v7, v10, -v8
	s_delay_alu instid0(VALU_DEP_2) | instskip(NEXT) | instid1(VALU_DEP_2)
	v_cvt_f64_f32_e32 v[7:8], v11
	v_cvt_f64_f32_e32 v[9:10], v9
	v_mad_co_u64_u32 v[11:12], null, s6, v88, 0
	s_wait_alu 0xfffe
	s_delay_alu instid0(VALU_DEP_3) | instskip(NEXT) | instid1(VALU_DEP_3)
	v_mul_f64_e32 v[7:8], s[0:1], v[7:8]
	v_mul_f64_e32 v[9:10], s[0:1], v[9:10]
	s_delay_alu instid0(VALU_DEP_2) | instskip(NEXT) | instid1(VALU_DEP_2)
	v_cvt_f32_f64_e32 v7, v[7:8]
	v_cvt_f32_f64_e32 v8, v[9:10]
	v_dual_mov_b32 v10, v14 :: v_dual_mov_b32 v9, v12
	s_delay_alu instid0(VALU_DEP_1) | instskip(SKIP_1) | instid1(VALU_DEP_2)
	v_mad_co_u64_u32 v[14:15], null, s7, v88, v[9:10]
	v_mad_co_u64_u32 v[9:10], null, s5, v98, v[10:11]
	v_mov_b32_e32 v12, v14
	s_delay_alu instid0(VALU_DEP_2) | instskip(NEXT) | instid1(VALU_DEP_2)
	v_mov_b32_e32 v14, v9
	v_lshlrev_b64_e32 v[9:10], 3, v[11:12]
	s_delay_alu instid0(VALU_DEP_2) | instskip(NEXT) | instid1(VALU_DEP_2)
	v_lshlrev_b64_e32 v[11:12], 3, v[13:14]
	v_add_co_u32 v9, vcc_lo, s12, v9
	s_delay_alu instid0(VALU_DEP_3) | instskip(NEXT) | instid1(VALU_DEP_2)
	v_add_co_ci_u32_e32 v10, vcc_lo, s13, v10, vcc_lo
	v_add_co_u32 v11, vcc_lo, v9, v11
	s_wait_alu 0xfffd
	s_delay_alu instid0(VALU_DEP_2)
	v_add_co_ci_u32_e32 v12, vcc_lo, v10, v12, vcc_lo
	global_store_b64 v[11:12], v[7:8], off
	global_load_b64 v[13:14], v97, s[8:9] offset:616
	ds_load_2addr_b64 v[7:10], v97 offset0:77 offset1:154
	v_add_co_u32 v11, vcc_lo, v11, s2
	s_wait_alu 0xfffd
	v_add_co_ci_u32_e32 v12, vcc_lo, s3, v12, vcc_lo
	s_wait_loadcnt_dscnt 0x0
	v_mul_f32_e32 v15, v8, v14
	v_mul_f32_e32 v14, v7, v14
	s_delay_alu instid0(VALU_DEP_2) | instskip(NEXT) | instid1(VALU_DEP_2)
	v_fmac_f32_e32 v15, v7, v13
	v_fma_f32 v13, v13, v8, -v14
	s_delay_alu instid0(VALU_DEP_2) | instskip(NEXT) | instid1(VALU_DEP_2)
	v_cvt_f64_f32_e32 v[7:8], v15
	v_cvt_f64_f32_e32 v[13:14], v13
	s_delay_alu instid0(VALU_DEP_2) | instskip(NEXT) | instid1(VALU_DEP_2)
	v_mul_f64_e32 v[7:8], s[0:1], v[7:8]
	v_mul_f64_e32 v[13:14], s[0:1], v[13:14]
	s_delay_alu instid0(VALU_DEP_2) | instskip(NEXT) | instid1(VALU_DEP_2)
	v_cvt_f32_f64_e32 v7, v[7:8]
	v_cvt_f32_f64_e32 v8, v[13:14]
	global_store_b64 v[11:12], v[7:8], off
	global_load_b64 v[7:8], v97, s[8:9] offset:1232
	s_wait_loadcnt 0x0
	v_mul_f32_e32 v13, v10, v8
	v_mul_f32_e32 v8, v9, v8
	s_delay_alu instid0(VALU_DEP_2) | instskip(NEXT) | instid1(VALU_DEP_2)
	v_fmac_f32_e32 v13, v9, v7
	v_fma_f32 v9, v7, v10, -v8
	s_delay_alu instid0(VALU_DEP_2) | instskip(NEXT) | instid1(VALU_DEP_2)
	v_cvt_f64_f32_e32 v[7:8], v13
	v_cvt_f64_f32_e32 v[9:10], v9
	s_delay_alu instid0(VALU_DEP_2) | instskip(NEXT) | instid1(VALU_DEP_2)
	v_mul_f64_e32 v[7:8], s[0:1], v[7:8]
	v_mul_f64_e32 v[9:10], s[0:1], v[9:10]
	s_delay_alu instid0(VALU_DEP_2) | instskip(NEXT) | instid1(VALU_DEP_2)
	v_cvt_f32_f64_e32 v7, v[7:8]
	v_cvt_f32_f64_e32 v8, v[9:10]
	v_add_co_u32 v10, vcc_lo, v11, s2
	s_wait_alu 0xfffd
	v_add_co_ci_u32_e32 v11, vcc_lo, s3, v12, vcc_lo
	global_store_b64 v[10:11], v[7:8], off
	global_load_b64 v[12:13], v97, s[8:9] offset:1848
	ds_load_2addr_b64 v[6:9], v6 offset0:103 offset1:180
	v_add_co_u32 v10, vcc_lo, v10, s2
	s_wait_alu 0xfffd
	v_add_co_ci_u32_e32 v11, vcc_lo, s3, v11, vcc_lo
	s_wait_loadcnt_dscnt 0x0
	v_mul_f32_e32 v14, v7, v13
	v_mul_f32_e32 v13, v6, v13
	s_delay_alu instid0(VALU_DEP_2) | instskip(NEXT) | instid1(VALU_DEP_2)
	v_fmac_f32_e32 v14, v6, v12
	v_fma_f32 v12, v12, v7, -v13
	s_delay_alu instid0(VALU_DEP_2) | instskip(NEXT) | instid1(VALU_DEP_2)
	v_cvt_f64_f32_e32 v[6:7], v14
	v_cvt_f64_f32_e32 v[12:13], v12
	s_delay_alu instid0(VALU_DEP_2) | instskip(NEXT) | instid1(VALU_DEP_2)
	v_mul_f64_e32 v[6:7], s[0:1], v[6:7]
	v_mul_f64_e32 v[12:13], s[0:1], v[12:13]
	s_delay_alu instid0(VALU_DEP_2) | instskip(NEXT) | instid1(VALU_DEP_2)
	v_cvt_f32_f64_e32 v6, v[6:7]
	v_cvt_f32_f64_e32 v7, v[12:13]
	global_store_b64 v[10:11], v[6:7], off
	global_load_b64 v[6:7], v97, s[8:9] offset:2464
	v_add_co_u32 v10, vcc_lo, v10, s2
	s_wait_alu 0xfffd
	v_add_co_ci_u32_e32 v11, vcc_lo, s3, v11, vcc_lo
	s_wait_loadcnt 0x0
	v_mul_f32_e32 v12, v9, v7
	v_mul_f32_e32 v7, v8, v7
	s_delay_alu instid0(VALU_DEP_2) | instskip(NEXT) | instid1(VALU_DEP_2)
	v_fmac_f32_e32 v12, v8, v6
	v_fma_f32 v8, v6, v9, -v7
	s_delay_alu instid0(VALU_DEP_2) | instskip(NEXT) | instid1(VALU_DEP_2)
	v_cvt_f64_f32_e32 v[6:7], v12
	v_cvt_f64_f32_e32 v[8:9], v8
	s_delay_alu instid0(VALU_DEP_2) | instskip(NEXT) | instid1(VALU_DEP_2)
	v_mul_f64_e32 v[6:7], s[0:1], v[6:7]
	v_mul_f64_e32 v[8:9], s[0:1], v[8:9]
	s_delay_alu instid0(VALU_DEP_2) | instskip(NEXT) | instid1(VALU_DEP_2)
	v_cvt_f32_f64_e32 v6, v[6:7]
	v_cvt_f32_f64_e32 v7, v[8:9]
	global_store_b64 v[10:11], v[6:7], off
	global_load_b64 v[12:13], v97, s[8:9] offset:3080
	ds_load_2addr_b64 v[6:9], v3 offset0:129 offset1:206
	v_add_co_u32 v10, vcc_lo, v10, s2
	s_wait_alu 0xfffd
	v_add_co_ci_u32_e32 v11, vcc_lo, s3, v11, vcc_lo
	s_wait_loadcnt_dscnt 0x0
	v_mul_f32_e32 v3, v7, v13
	v_mul_f32_e32 v13, v6, v13
	s_delay_alu instid0(VALU_DEP_2) | instskip(NEXT) | instid1(VALU_DEP_2)
	v_fmac_f32_e32 v3, v6, v12
	v_fma_f32 v12, v12, v7, -v13
	s_delay_alu instid0(VALU_DEP_2) | instskip(NEXT) | instid1(VALU_DEP_2)
	v_cvt_f64_f32_e32 v[6:7], v3
	v_cvt_f64_f32_e32 v[12:13], v12
	s_delay_alu instid0(VALU_DEP_2) | instskip(NEXT) | instid1(VALU_DEP_2)
	v_mul_f64_e32 v[6:7], s[0:1], v[6:7]
	v_mul_f64_e32 v[12:13], s[0:1], v[12:13]
	s_delay_alu instid0(VALU_DEP_2) | instskip(NEXT) | instid1(VALU_DEP_2)
	v_cvt_f32_f64_e32 v6, v[6:7]
	v_cvt_f32_f64_e32 v7, v[12:13]
	global_store_b64 v[10:11], v[6:7], off
	global_load_b64 v[6:7], v97, s[8:9] offset:3696
	v_add_co_u32 v10, vcc_lo, v10, s2
	s_wait_alu 0xfffd
	v_add_co_ci_u32_e32 v11, vcc_lo, s3, v11, vcc_lo
	s_wait_loadcnt 0x0
	v_mul_f32_e32 v3, v9, v7
	v_mul_f32_e32 v7, v8, v7
	s_delay_alu instid0(VALU_DEP_2) | instskip(NEXT) | instid1(VALU_DEP_2)
	v_fmac_f32_e32 v3, v8, v6
	v_fma_f32 v8, v6, v9, -v7
	s_delay_alu instid0(VALU_DEP_2) | instskip(NEXT) | instid1(VALU_DEP_2)
	v_cvt_f64_f32_e32 v[6:7], v3
	v_cvt_f64_f32_e32 v[8:9], v8
	s_delay_alu instid0(VALU_DEP_2) | instskip(NEXT) | instid1(VALU_DEP_2)
	v_mul_f64_e32 v[6:7], s[0:1], v[6:7]
	v_mul_f64_e32 v[8:9], s[0:1], v[8:9]
	s_delay_alu instid0(VALU_DEP_2) | instskip(NEXT) | instid1(VALU_DEP_2)
	v_cvt_f32_f64_e32 v6, v[6:7]
	v_cvt_f32_f64_e32 v7, v[8:9]
	global_store_b64 v[10:11], v[6:7], off
	global_load_b64 v[12:13], v97, s[8:9] offset:4312
	ds_load_2addr_b64 v[6:9], v2 offset0:27 offset1:104
	s_wait_loadcnt_dscnt 0x0
	v_mul_f32_e32 v2, v7, v13
	v_mul_f32_e32 v3, v6, v13
	s_delay_alu instid0(VALU_DEP_2) | instskip(NEXT) | instid1(VALU_DEP_2)
	v_fmac_f32_e32 v2, v6, v12
	v_fma_f32 v6, v12, v7, -v3
	s_delay_alu instid0(VALU_DEP_2) | instskip(NEXT) | instid1(VALU_DEP_2)
	v_cvt_f64_f32_e32 v[2:3], v2
	v_cvt_f64_f32_e32 v[6:7], v6
	s_delay_alu instid0(VALU_DEP_2) | instskip(NEXT) | instid1(VALU_DEP_2)
	v_mul_f64_e32 v[2:3], s[0:1], v[2:3]
	v_mul_f64_e32 v[6:7], s[0:1], v[6:7]
	s_delay_alu instid0(VALU_DEP_2) | instskip(NEXT) | instid1(VALU_DEP_2)
	v_cvt_f32_f64_e32 v2, v[2:3]
	v_cvt_f32_f64_e32 v3, v[6:7]
	v_add_co_u32 v6, vcc_lo, v10, s2
	s_wait_alu 0xfffd
	v_add_co_ci_u32_e32 v7, vcc_lo, s3, v11, vcc_lo
	global_store_b64 v[6:7], v[2:3], off
	global_load_b64 v[2:3], v97, s[8:9] offset:4928
	s_wait_loadcnt 0x0
	v_mul_f32_e32 v10, v9, v3
	v_mul_f32_e32 v3, v8, v3
	s_delay_alu instid0(VALU_DEP_2) | instskip(NEXT) | instid1(VALU_DEP_2)
	v_fmac_f32_e32 v10, v8, v2
	v_fma_f32 v8, v2, v9, -v3
	s_delay_alu instid0(VALU_DEP_2) | instskip(NEXT) | instid1(VALU_DEP_2)
	v_cvt_f64_f32_e32 v[2:3], v10
	v_cvt_f64_f32_e32 v[8:9], v8
	s_delay_alu instid0(VALU_DEP_2) | instskip(NEXT) | instid1(VALU_DEP_2)
	v_mul_f64_e32 v[2:3], s[0:1], v[2:3]
	v_mul_f64_e32 v[8:9], s[0:1], v[8:9]
	s_delay_alu instid0(VALU_DEP_2) | instskip(NEXT) | instid1(VALU_DEP_2)
	v_cvt_f32_f64_e32 v2, v[2:3]
	v_cvt_f32_f64_e32 v3, v[8:9]
	v_add_co_u32 v9, vcc_lo, v6, s2
	s_wait_alu 0xfffd
	v_add_co_ci_u32_e32 v10, vcc_lo, s3, v7, vcc_lo
	ds_load_2addr_b64 v[5:8], v5 offset0:53 offset1:130
	global_store_b64 v[9:10], v[2:3], off
	global_load_b64 v[2:3], v97, s[8:9] offset:5544
	s_wait_loadcnt_dscnt 0x0
	v_mul_f32_e32 v11, v6, v3
	v_mul_f32_e32 v3, v5, v3
	s_delay_alu instid0(VALU_DEP_2) | instskip(NEXT) | instid1(VALU_DEP_2)
	v_fmac_f32_e32 v11, v5, v2
	v_fma_f32 v5, v2, v6, -v3
	s_delay_alu instid0(VALU_DEP_2) | instskip(NEXT) | instid1(VALU_DEP_2)
	v_cvt_f64_f32_e32 v[2:3], v11
	v_cvt_f64_f32_e32 v[5:6], v5
	s_delay_alu instid0(VALU_DEP_2) | instskip(NEXT) | instid1(VALU_DEP_2)
	v_mul_f64_e32 v[2:3], s[0:1], v[2:3]
	v_mul_f64_e32 v[5:6], s[0:1], v[5:6]
	s_delay_alu instid0(VALU_DEP_2) | instskip(NEXT) | instid1(VALU_DEP_2)
	v_cvt_f32_f64_e32 v2, v[2:3]
	v_cvt_f32_f64_e32 v3, v[5:6]
	v_add_co_u32 v5, vcc_lo, v9, s2
	s_wait_alu 0xfffd
	v_add_co_ci_u32_e32 v6, vcc_lo, s3, v10, vcc_lo
	global_store_b64 v[5:6], v[2:3], off
	global_load_b64 v[2:3], v97, s[8:9] offset:6160
	s_wait_loadcnt 0x0
	v_mul_f32_e32 v9, v8, v3
	v_mul_f32_e32 v3, v7, v3
	s_delay_alu instid0(VALU_DEP_2) | instskip(NEXT) | instid1(VALU_DEP_2)
	v_fmac_f32_e32 v9, v7, v2
	v_fma_f32 v7, v2, v8, -v3
	s_delay_alu instid0(VALU_DEP_2) | instskip(NEXT) | instid1(VALU_DEP_2)
	v_cvt_f64_f32_e32 v[2:3], v9
	v_cvt_f64_f32_e32 v[7:8], v7
	v_add_co_u32 v9, vcc_lo, v5, s2
	s_wait_alu 0xfffd
	v_add_co_ci_u32_e32 v10, vcc_lo, s3, v6, vcc_lo
	s_delay_alu instid0(VALU_DEP_4) | instskip(NEXT) | instid1(VALU_DEP_4)
	v_mul_f64_e32 v[2:3], s[0:1], v[2:3]
	v_mul_f64_e32 v[7:8], s[0:1], v[7:8]
	s_delay_alu instid0(VALU_DEP_2) | instskip(NEXT) | instid1(VALU_DEP_2)
	v_cvt_f32_f64_e32 v2, v[2:3]
	v_cvt_f32_f64_e32 v3, v[7:8]
	ds_load_2addr_b64 v[5:8], v1 offset0:79 offset1:156
	global_store_b64 v[9:10], v[2:3], off
	global_load_b64 v[2:3], v97, s[8:9] offset:6776
	s_wait_loadcnt_dscnt 0x0
	v_mul_f32_e32 v1, v6, v3
	v_mul_f32_e32 v3, v5, v3
	s_delay_alu instid0(VALU_DEP_2) | instskip(NEXT) | instid1(VALU_DEP_2)
	v_fmac_f32_e32 v1, v5, v2
	v_fma_f32 v3, v2, v6, -v3
	s_delay_alu instid0(VALU_DEP_2) | instskip(NEXT) | instid1(VALU_DEP_2)
	v_cvt_f64_f32_e32 v[1:2], v1
	v_cvt_f64_f32_e32 v[5:6], v3
	s_delay_alu instid0(VALU_DEP_2) | instskip(NEXT) | instid1(VALU_DEP_2)
	v_mul_f64_e32 v[1:2], s[0:1], v[1:2]
	v_mul_f64_e32 v[5:6], s[0:1], v[5:6]
	s_delay_alu instid0(VALU_DEP_2) | instskip(NEXT) | instid1(VALU_DEP_2)
	v_cvt_f32_f64_e32 v1, v[1:2]
	v_cvt_f32_f64_e32 v2, v[5:6]
	v_add_co_u32 v5, vcc_lo, v9, s2
	s_wait_alu 0xfffd
	v_add_co_ci_u32_e32 v6, vcc_lo, s3, v10, vcc_lo
	global_store_b64 v[5:6], v[1:2], off
	global_load_b64 v[1:2], v97, s[8:9] offset:7392
	v_add_co_u32 v5, vcc_lo, v5, s2
	s_wait_alu 0xfffd
	v_add_co_ci_u32_e32 v6, vcc_lo, s3, v6, vcc_lo
	s_wait_loadcnt 0x0
	v_mul_f32_e32 v3, v8, v2
	v_mul_f32_e32 v2, v7, v2
	s_delay_alu instid0(VALU_DEP_2) | instskip(NEXT) | instid1(VALU_DEP_2)
	v_fmac_f32_e32 v3, v7, v1
	v_fma_f32 v7, v1, v8, -v2
	s_delay_alu instid0(VALU_DEP_2) | instskip(NEXT) | instid1(VALU_DEP_2)
	v_cvt_f64_f32_e32 v[1:2], v3
	v_cvt_f64_f32_e32 v[7:8], v7
	s_delay_alu instid0(VALU_DEP_2) | instskip(NEXT) | instid1(VALU_DEP_2)
	v_mul_f64_e32 v[1:2], s[0:1], v[1:2]
	v_mul_f64_e32 v[7:8], s[0:1], v[7:8]
	s_delay_alu instid0(VALU_DEP_2) | instskip(NEXT) | instid1(VALU_DEP_2)
	v_cvt_f32_f64_e32 v1, v[1:2]
	v_cvt_f32_f64_e32 v2, v[7:8]
	global_store_b64 v[5:6], v[1:2], off
	global_load_b64 v[7:8], v97, s[8:9] offset:8008
	ds_load_2addr_b64 v[1:4], v4 offset0:105 offset1:182
	v_add_co_u32 v5, vcc_lo, v5, s2
	s_wait_alu 0xfffd
	v_add_co_ci_u32_e32 v6, vcc_lo, s3, v6, vcc_lo
	s_wait_loadcnt_dscnt 0x0
	v_mul_f32_e32 v9, v2, v8
	v_mul_f32_e32 v8, v1, v8
	s_delay_alu instid0(VALU_DEP_2) | instskip(NEXT) | instid1(VALU_DEP_2)
	v_fmac_f32_e32 v9, v1, v7
	v_fma_f32 v7, v7, v2, -v8
	s_delay_alu instid0(VALU_DEP_2) | instskip(NEXT) | instid1(VALU_DEP_2)
	v_cvt_f64_f32_e32 v[1:2], v9
	v_cvt_f64_f32_e32 v[7:8], v7
	s_delay_alu instid0(VALU_DEP_2) | instskip(NEXT) | instid1(VALU_DEP_2)
	v_mul_f64_e32 v[1:2], s[0:1], v[1:2]
	v_mul_f64_e32 v[7:8], s[0:1], v[7:8]
	s_delay_alu instid0(VALU_DEP_2) | instskip(NEXT) | instid1(VALU_DEP_2)
	v_cvt_f32_f64_e32 v1, v[1:2]
	v_cvt_f32_f64_e32 v2, v[7:8]
	global_store_b64 v[5:6], v[1:2], off
	global_load_b64 v[1:2], v97, s[8:9] offset:8624
	s_wait_loadcnt 0x0
	v_mul_f32_e32 v7, v4, v2
	v_mul_f32_e32 v2, v3, v2
	s_delay_alu instid0(VALU_DEP_2) | instskip(NEXT) | instid1(VALU_DEP_2)
	v_fmac_f32_e32 v7, v3, v1
	v_fma_f32 v3, v1, v4, -v2
	s_delay_alu instid0(VALU_DEP_2) | instskip(NEXT) | instid1(VALU_DEP_2)
	v_cvt_f64_f32_e32 v[1:2], v7
	v_cvt_f64_f32_e32 v[3:4], v3
	s_delay_alu instid0(VALU_DEP_2) | instskip(NEXT) | instid1(VALU_DEP_2)
	v_mul_f64_e32 v[1:2], s[0:1], v[1:2]
	v_mul_f64_e32 v[3:4], s[0:1], v[3:4]
	s_delay_alu instid0(VALU_DEP_2) | instskip(NEXT) | instid1(VALU_DEP_2)
	v_cvt_f32_f64_e32 v1, v[1:2]
	v_cvt_f32_f64_e32 v2, v[3:4]
	v_add_co_u32 v4, vcc_lo, v5, s2
	s_wait_alu 0xfffd
	v_add_co_ci_u32_e32 v5, vcc_lo, s3, v6, vcc_lo
	global_store_b64 v[4:5], v[1:2], off
	global_load_b64 v[6:7], v97, s[8:9] offset:9240
	ds_load_2addr_b64 v[0:3], v0 offset0:131 offset1:208
	v_add_co_u32 v4, vcc_lo, v4, s2
	s_wait_alu 0xfffd
	v_add_co_ci_u32_e32 v5, vcc_lo, s3, v5, vcc_lo
	s_wait_loadcnt_dscnt 0x0
	v_mul_f32_e32 v8, v1, v7
	v_mul_f32_e32 v7, v0, v7
	s_delay_alu instid0(VALU_DEP_2) | instskip(NEXT) | instid1(VALU_DEP_2)
	v_fmac_f32_e32 v8, v0, v6
	v_fma_f32 v6, v6, v1, -v7
	s_delay_alu instid0(VALU_DEP_2) | instskip(NEXT) | instid1(VALU_DEP_2)
	v_cvt_f64_f32_e32 v[0:1], v8
	v_cvt_f64_f32_e32 v[6:7], v6
	s_delay_alu instid0(VALU_DEP_2) | instskip(NEXT) | instid1(VALU_DEP_2)
	v_mul_f64_e32 v[0:1], s[0:1], v[0:1]
	v_mul_f64_e32 v[6:7], s[0:1], v[6:7]
	s_delay_alu instid0(VALU_DEP_2) | instskip(NEXT) | instid1(VALU_DEP_2)
	v_cvt_f32_f64_e32 v0, v[0:1]
	v_cvt_f32_f64_e32 v1, v[6:7]
	global_store_b64 v[4:5], v[0:1], off
	global_load_b64 v[0:1], v97, s[8:9] offset:9856
	s_wait_loadcnt 0x0
	v_mul_f32_e32 v6, v3, v1
	v_mul_f32_e32 v1, v2, v1
	s_delay_alu instid0(VALU_DEP_2) | instskip(NEXT) | instid1(VALU_DEP_2)
	v_fmac_f32_e32 v6, v2, v0
	v_fma_f32 v2, v0, v3, -v1
	s_delay_alu instid0(VALU_DEP_2) | instskip(NEXT) | instid1(VALU_DEP_2)
	v_cvt_f64_f32_e32 v[0:1], v6
	v_cvt_f64_f32_e32 v[2:3], v2
	s_delay_alu instid0(VALU_DEP_2) | instskip(NEXT) | instid1(VALU_DEP_2)
	v_mul_f64_e32 v[0:1], s[0:1], v[0:1]
	v_mul_f64_e32 v[2:3], s[0:1], v[2:3]
	s_delay_alu instid0(VALU_DEP_2) | instskip(NEXT) | instid1(VALU_DEP_2)
	v_cvt_f32_f64_e32 v0, v[0:1]
	v_cvt_f32_f64_e32 v1, v[2:3]
	v_add_co_u32 v2, vcc_lo, v4, s2
	s_wait_alu 0xfffd
	v_add_co_ci_u32_e32 v3, vcc_lo, s3, v5, vcc_lo
	global_store_b64 v[2:3], v[0:1], off
.LBB0_23:
	s_nop 0
	s_sendmsg sendmsg(MSG_DEALLOC_VGPRS)
	s_endpgm
	.section	.rodata,"a",@progbits
	.p2align	6, 0x0
	.amdhsa_kernel bluestein_single_back_len1309_dim1_sp_op_CI_CI
		.amdhsa_group_segment_fixed_size 10472
		.amdhsa_private_segment_fixed_size 0
		.amdhsa_kernarg_size 104
		.amdhsa_user_sgpr_count 2
		.amdhsa_user_sgpr_dispatch_ptr 0
		.amdhsa_user_sgpr_queue_ptr 0
		.amdhsa_user_sgpr_kernarg_segment_ptr 1
		.amdhsa_user_sgpr_dispatch_id 0
		.amdhsa_user_sgpr_private_segment_size 0
		.amdhsa_wavefront_size32 1
		.amdhsa_uses_dynamic_stack 0
		.amdhsa_enable_private_segment 0
		.amdhsa_system_sgpr_workgroup_id_x 1
		.amdhsa_system_sgpr_workgroup_id_y 0
		.amdhsa_system_sgpr_workgroup_id_z 0
		.amdhsa_system_sgpr_workgroup_info 0
		.amdhsa_system_vgpr_workitem_id 0
		.amdhsa_next_free_vgpr 216
		.amdhsa_next_free_sgpr 14
		.amdhsa_reserve_vcc 1
		.amdhsa_float_round_mode_32 0
		.amdhsa_float_round_mode_16_64 0
		.amdhsa_float_denorm_mode_32 3
		.amdhsa_float_denorm_mode_16_64 3
		.amdhsa_fp16_overflow 0
		.amdhsa_workgroup_processor_mode 1
		.amdhsa_memory_ordered 1
		.amdhsa_forward_progress 0
		.amdhsa_round_robin_scheduling 0
		.amdhsa_exception_fp_ieee_invalid_op 0
		.amdhsa_exception_fp_denorm_src 0
		.amdhsa_exception_fp_ieee_div_zero 0
		.amdhsa_exception_fp_ieee_overflow 0
		.amdhsa_exception_fp_ieee_underflow 0
		.amdhsa_exception_fp_ieee_inexact 0
		.amdhsa_exception_int_div_zero 0
	.end_amdhsa_kernel
	.text
.Lfunc_end0:
	.size	bluestein_single_back_len1309_dim1_sp_op_CI_CI, .Lfunc_end0-bluestein_single_back_len1309_dim1_sp_op_CI_CI
                                        ; -- End function
	.section	.AMDGPU.csdata,"",@progbits
; Kernel info:
; codeLenInByte = 23892
; NumSgprs: 16
; NumVgprs: 216
; ScratchSize: 0
; MemoryBound: 0
; FloatMode: 240
; IeeeMode: 1
; LDSByteSize: 10472 bytes/workgroup (compile time only)
; SGPRBlocks: 1
; VGPRBlocks: 26
; NumSGPRsForWavesPerEU: 16
; NumVGPRsForWavesPerEU: 216
; Occupancy: 7
; WaveLimiterHint : 1
; COMPUTE_PGM_RSRC2:SCRATCH_EN: 0
; COMPUTE_PGM_RSRC2:USER_SGPR: 2
; COMPUTE_PGM_RSRC2:TRAP_HANDLER: 0
; COMPUTE_PGM_RSRC2:TGID_X_EN: 1
; COMPUTE_PGM_RSRC2:TGID_Y_EN: 0
; COMPUTE_PGM_RSRC2:TGID_Z_EN: 0
; COMPUTE_PGM_RSRC2:TIDIG_COMP_CNT: 0
	.text
	.p2alignl 7, 3214868480
	.fill 96, 4, 3214868480
	.type	__hip_cuid_13df6e3b33460d42,@object ; @__hip_cuid_13df6e3b33460d42
	.section	.bss,"aw",@nobits
	.globl	__hip_cuid_13df6e3b33460d42
__hip_cuid_13df6e3b33460d42:
	.byte	0                               ; 0x0
	.size	__hip_cuid_13df6e3b33460d42, 1

	.ident	"AMD clang version 19.0.0git (https://github.com/RadeonOpenCompute/llvm-project roc-6.4.0 25133 c7fe45cf4b819c5991fe208aaa96edf142730f1d)"
	.section	".note.GNU-stack","",@progbits
	.addrsig
	.addrsig_sym __hip_cuid_13df6e3b33460d42
	.amdgpu_metadata
---
amdhsa.kernels:
  - .args:
      - .actual_access:  read_only
        .address_space:  global
        .offset:         0
        .size:           8
        .value_kind:     global_buffer
      - .actual_access:  read_only
        .address_space:  global
        .offset:         8
        .size:           8
        .value_kind:     global_buffer
      - .actual_access:  read_only
        .address_space:  global
        .offset:         16
        .size:           8
        .value_kind:     global_buffer
      - .actual_access:  read_only
        .address_space:  global
        .offset:         24
        .size:           8
        .value_kind:     global_buffer
      - .actual_access:  read_only
        .address_space:  global
        .offset:         32
        .size:           8
        .value_kind:     global_buffer
      - .offset:         40
        .size:           8
        .value_kind:     by_value
      - .address_space:  global
        .offset:         48
        .size:           8
        .value_kind:     global_buffer
      - .address_space:  global
        .offset:         56
        .size:           8
        .value_kind:     global_buffer
      - .address_space:  global
        .offset:         64
        .size:           8
        .value_kind:     global_buffer
      - .address_space:  global
        .offset:         72
        .size:           8
        .value_kind:     global_buffer
      - .offset:         80
        .size:           4
        .value_kind:     by_value
      - .address_space:  global
        .offset:         88
        .size:           8
        .value_kind:     global_buffer
      - .address_space:  global
        .offset:         96
        .size:           8
        .value_kind:     global_buffer
    .group_segment_fixed_size: 10472
    .kernarg_segment_align: 8
    .kernarg_segment_size: 104
    .language:       OpenCL C
    .language_version:
      - 2
      - 0
    .max_flat_workgroup_size: 119
    .name:           bluestein_single_back_len1309_dim1_sp_op_CI_CI
    .private_segment_fixed_size: 0
    .sgpr_count:     16
    .sgpr_spill_count: 0
    .symbol:         bluestein_single_back_len1309_dim1_sp_op_CI_CI.kd
    .uniform_work_group_size: 1
    .uses_dynamic_stack: false
    .vgpr_count:     216
    .vgpr_spill_count: 0
    .wavefront_size: 32
    .workgroup_processor_mode: 1
amdhsa.target:   amdgcn-amd-amdhsa--gfx1201
amdhsa.version:
  - 1
  - 2
...

	.end_amdgpu_metadata
